;; amdgpu-corpus repo=ROCm/rocFFT kind=compiled arch=gfx950 opt=O3
	.text
	.amdgcn_target "amdgcn-amd-amdhsa--gfx950"
	.amdhsa_code_object_version 6
	.protected	bluestein_single_fwd_len1224_dim1_half_op_CI_CI ; -- Begin function bluestein_single_fwd_len1224_dim1_half_op_CI_CI
	.globl	bluestein_single_fwd_len1224_dim1_half_op_CI_CI
	.p2align	8
	.type	bluestein_single_fwd_len1224_dim1_half_op_CI_CI,@function
bluestein_single_fwd_len1224_dim1_half_op_CI_CI: ; @bluestein_single_fwd_len1224_dim1_half_op_CI_CI
; %bb.0:
	s_load_dwordx4 s[8:11], s[0:1], 0x28
	v_mul_u32_u24_e32 v1, 0x283, v0
	v_lshrrev_b32_e32 v1, 16, v1
	v_mov_b32_e32 v21, 0
	v_lshl_add_u32 v24, s2, 1, v1
	v_mov_b32_e32 v25, v21
	s_waitcnt lgkmcnt(0)
	v_cmp_gt_u64_e32 vcc, s[8:9], v[24:25]
	s_and_saveexec_b64 s[2:3], vcc
	s_cbranch_execz .LBB0_15
; %bb.1:
	s_load_dwordx2 s[12:13], s[0:1], 0x0
	s_load_dwordx2 s[14:15], s[0:1], 0x38
	v_mul_lo_u16_e32 v2, 0x66, v1
	v_sub_u16_e32 v20, v0, v2
	v_and_b32_e32 v0, 1, v1
	v_mov_b32_e32 v1, 0x4c8
	v_cmp_eq_u32_e32 vcc, 1, v0
	s_movk_i32 s2, 0x48
	v_lshlrev_b32_e32 v22, 2, v20
	v_cndmask_b32_e32 v30, 0, v1, vcc
	v_cmp_gt_u16_e32 vcc, s2, v20
	v_lshlrev_b32_e32 v25, 2, v30
	s_and_saveexec_b64 s[8:9], vcc
	s_cbranch_execz .LBB0_3
; %bb.2:
	s_load_dwordx2 s[2:3], s[0:1], 0x18
	v_mov_b32_e32 v0, s10
	v_mov_b32_e32 v1, s11
	v_lshl_add_u32 v17, v20, 2, v25
	v_mov_b32_e32 v23, 0
	s_waitcnt lgkmcnt(0)
	s_load_dwordx4 s[4:7], s[2:3], 0x0
	v_add_u32_e32 v18, v25, v22
	v_or_b32_e32 v27, 0x480, v20
	s_waitcnt lgkmcnt(0)
	v_mad_u64_u32 v[2:3], s[2:3], s6, v24, 0
	v_mad_u64_u32 v[4:5], s[2:3], s4, v20, 0
	v_mov_b32_e32 v6, v3
	v_mov_b32_e32 v8, v5
	v_mad_u64_u32 v[6:7], s[2:3], s7, v24, v[6:7]
	v_mov_b32_e32 v3, v6
	v_mad_u64_u32 v[6:7], s[2:3], s5, v20, v[8:9]
	v_mov_b32_e32 v5, v6
	v_lshl_add_u64 v[0:1], v[2:3], 2, v[0:1]
	v_lshl_add_u64 v[2:3], v[4:5], 2, v[0:1]
	global_load_dword v6, v[2:3], off
	global_load_dword v8, v22, s[12:13]
	v_mov_b32_e32 v7, 0x120
	v_mad_u64_u32 v[2:3], s[2:3], s4, v7, v[2:3]
	s_mul_i32 s2, s5, 0x120
	s_nop 0
	v_add_u32_e32 v3, s2, v3
	global_load_dword v9, v[2:3], off
	global_load_dword v10, v22, s[12:13] offset:288
	v_mad_u64_u32 v[2:3], s[6:7], s4, v7, v[2:3]
	v_add_u32_e32 v3, s2, v3
	global_load_dword v11, v[2:3], off
	global_load_dword v12, v22, s[12:13] offset:576
	v_mad_u64_u32 v[2:3], s[6:7], s4, v7, v[2:3]
	;; [unrolled: 4-line block ×4, first 2 shown]
	v_add_u32_e32 v3, s2, v3
	global_load_dword v19, v22, s[12:13] offset:1440
	global_load_dword v26, v22, s[12:13] offset:1728
	global_load_dword v28, v[2:3], off
	v_mad_u64_u32 v[2:3], s[6:7], s4, v7, v[2:3]
	v_add_u32_e32 v3, s2, v3
	global_load_dword v29, v[2:3], off
	v_mad_u64_u32 v[2:3], s[6:7], s4, v7, v[2:3]
	v_add_u32_e32 v3, s2, v3
	;; [unrolled: 3-line block ×5, first 2 shown]
	v_lshl_add_u64 v[4:5], s[12:13], 0, v[22:23]
	v_lshlrev_b32_e32 v23, 2, v27
	global_load_dword v34, v[2:3], off
	v_mad_u64_u32 v[2:3], s[6:7], s4, v7, v[2:3]
	global_load_dword v23, v23, s[12:13]
	v_add_u32_e32 v3, s2, v3
	s_waitcnt vmcnt(18)
	v_lshrrev_b32_e32 v35, 16, v6
	s_waitcnt vmcnt(17)
	v_mul_f16_sdwa v36, v8, v6 dst_sel:DWORD dst_unused:UNUSED_PAD src0_sel:WORD_1 src1_sel:DWORD
	v_mul_f16_sdwa v37, v8, v35 dst_sel:DWORD dst_unused:UNUSED_PAD src0_sel:WORD_1 src1_sel:DWORD
	v_fma_f16 v35, v8, v35, -v36
	v_fma_f16 v6, v8, v6, v37
	v_pack_b32_f16 v6, v6, v35
	ds_write_b32 v17, v6
	global_load_dword v6, v22, s[12:13] offset:2016
	s_waitcnt vmcnt(17)
	v_lshrrev_b32_e32 v8, 16, v9
	s_waitcnt vmcnt(16)
	v_mul_f16_sdwa v35, v10, v8 dst_sel:DWORD dst_unused:UNUSED_PAD src0_sel:WORD_1 src1_sel:DWORD
	v_mul_f16_sdwa v36, v10, v9 dst_sel:DWORD dst_unused:UNUSED_PAD src0_sel:WORD_1 src1_sel:DWORD
	v_fma_f16 v9, v10, v9, v35
	global_load_dword v35, v22, s[12:13] offset:2304
	v_fma_f16 v8, v10, v8, -v36
	s_waitcnt vmcnt(16)
	v_lshrrev_b32_e32 v10, 16, v11
	s_waitcnt vmcnt(15)
	v_mul_f16_sdwa v17, v12, v11 dst_sel:DWORD dst_unused:UNUSED_PAD src0_sel:WORD_1 src1_sel:DWORD
	v_pack_b32_f16 v8, v9, v8
	v_mul_f16_sdwa v9, v12, v10 dst_sel:DWORD dst_unused:UNUSED_PAD src0_sel:WORD_1 src1_sel:DWORD
	v_fma_f16 v10, v12, v10, -v17
	v_fma_f16 v9, v12, v11, v9
	s_waitcnt vmcnt(14)
	v_lshrrev_b32_e32 v11, 16, v13
	s_waitcnt vmcnt(13)
	v_mul_f16_sdwa v12, v14, v13 dst_sel:DWORD dst_unused:UNUSED_PAD src0_sel:WORD_1 src1_sel:DWORD
	v_pack_b32_f16 v9, v9, v10
	v_mul_f16_sdwa v10, v14, v11 dst_sel:DWORD dst_unused:UNUSED_PAD src0_sel:WORD_1 src1_sel:DWORD
	v_fma_f16 v11, v14, v11, -v12
	global_load_dword v12, v22, s[12:13] offset:2592
	ds_write2_b32 v18, v8, v9 offset0:72 offset1:144
	v_fma_f16 v8, v14, v13, v10
	v_pack_b32_f16 v8, v8, v11
	global_load_dword v11, v22, s[12:13] offset:2880
	s_waitcnt vmcnt(14)
	v_lshrrev_b32_e32 v9, 16, v15
	s_waitcnt vmcnt(13)
	v_mul_f16_sdwa v10, v16, v9 dst_sel:DWORD dst_unused:UNUSED_PAD src0_sel:WORD_1 src1_sel:DWORD
	v_fma_f16 v10, v16, v15, v10
	v_mul_f16_sdwa v13, v16, v15 dst_sel:DWORD dst_unused:UNUSED_PAD src0_sel:WORD_1 src1_sel:DWORD
	global_load_dword v14, v[2:3], off
	global_load_dword v15, v22, s[12:13] offset:3168
	v_mad_u64_u32 v[2:3], s[6:7], s4, v7, v[2:3]
	v_add_u32_e32 v3, s2, v3
	global_load_dword v17, v[2:3], off
	v_mad_u64_u32 v[2:3], s[6:7], s4, v7, v[2:3]
	global_load_dword v36, v22, s[12:13] offset:3456
	v_add_u32_e32 v3, s2, v3
	global_load_dword v37, v[2:3], off
	v_mad_u64_u32 v[2:3], s[6:7], s4, v7, v[2:3]
	v_add_u32_e32 v3, s2, v3
	global_load_dword v38, v[2:3], off
	global_load_dword v39, v22, s[12:13] offset:3744
	global_load_dword v40, v22, s[12:13] offset:4032
	v_mad_u64_u32 v[2:3], s[6:7], s4, v7, v[2:3]
	v_add_u32_e32 v3, s2, v3
	s_movk_i32 s2, 0x1000
	global_load_dword v7, v[2:3], off
	v_add_co_u32_e64 v2, s[2:3], s2, v4
	s_nop 1
	v_addc_co_u32_e64 v3, s[2:3], 0, v5, s[2:3]
	global_load_dword v41, v[2:3], off offset:224
	v_mad_u64_u32 v[2:3], s[2:3], s4, v27, 0
	v_mov_b32_e32 v4, v3
	v_mad_u64_u32 v[4:5], s[2:3], s5, v27, v[4:5]
	v_mov_b32_e32 v3, v4
	v_lshl_add_u64 v[0:1], v[2:3], 2, v[0:1]
	global_load_dword v0, v[0:1], off
	v_fma_f16 v1, v16, v9, -v13
	v_pack_b32_f16 v1, v10, v1
	v_add_u32_e32 v2, 0x200, v18
	ds_write2_b32 v2, v8, v1 offset0:88 offset1:160
	s_waitcnt vmcnt(21)
	v_lshrrev_b32_e32 v1, 16, v28
	v_mul_f16_sdwa v2, v19, v1 dst_sel:DWORD dst_unused:UNUSED_PAD src0_sel:WORD_1 src1_sel:DWORD
	v_mul_f16_sdwa v3, v19, v28 dst_sel:DWORD dst_unused:UNUSED_PAD src0_sel:WORD_1 src1_sel:DWORD
	v_fma_f16 v2, v19, v28, v2
	v_fma_f16 v1, v19, v1, -v3
	v_pack_b32_f16 v1, v2, v1
	s_waitcnt vmcnt(20)
	v_lshrrev_b32_e32 v2, 16, v29
	v_mul_f16_sdwa v3, v26, v2 dst_sel:DWORD dst_unused:UNUSED_PAD src0_sel:WORD_1 src1_sel:DWORD
	v_mul_f16_sdwa v4, v26, v29 dst_sel:DWORD dst_unused:UNUSED_PAD src0_sel:WORD_1 src1_sel:DWORD
	v_fma_f16 v3, v26, v29, v3
	v_fma_f16 v2, v26, v2, -v4
	v_pack_b32_f16 v2, v3, v2
	v_add_u32_e32 v3, 0x400, v18
	ds_write2_b32 v3, v1, v2 offset0:104 offset1:176
	s_waitcnt vmcnt(19)
	v_lshrrev_b32_e32 v1, 16, v31
	s_waitcnt vmcnt(14)
	v_mul_f16_sdwa v2, v6, v1 dst_sel:DWORD dst_unused:UNUSED_PAD src0_sel:WORD_1 src1_sel:DWORD
	v_mul_f16_sdwa v3, v6, v31 dst_sel:DWORD dst_unused:UNUSED_PAD src0_sel:WORD_1 src1_sel:DWORD
	v_fma_f16 v2, v6, v31, v2
	v_fma_f16 v1, v6, v1, -v3
	v_pack_b32_f16 v1, v2, v1
	v_lshrrev_b32_e32 v2, 16, v32
	s_waitcnt vmcnt(13)
	v_mul_f16_sdwa v3, v35, v2 dst_sel:DWORD dst_unused:UNUSED_PAD src0_sel:WORD_1 src1_sel:DWORD
	v_mul_f16_sdwa v4, v35, v32 dst_sel:DWORD dst_unused:UNUSED_PAD src0_sel:WORD_1 src1_sel:DWORD
	v_fma_f16 v3, v35, v32, v3
	v_fma_f16 v2, v35, v2, -v4
	v_pack_b32_f16 v2, v3, v2
	v_add_u32_e32 v3, 0x600, v18
	ds_write2_b32 v3, v1, v2 offset0:120 offset1:192
	v_lshrrev_b32_e32 v1, 16, v33
	s_waitcnt vmcnt(12)
	v_mul_f16_sdwa v2, v12, v1 dst_sel:DWORD dst_unused:UNUSED_PAD src0_sel:WORD_1 src1_sel:DWORD
	v_mul_f16_sdwa v3, v12, v33 dst_sel:DWORD dst_unused:UNUSED_PAD src0_sel:WORD_1 src1_sel:DWORD
	v_fma_f16 v2, v12, v33, v2
	v_fma_f16 v1, v12, v1, -v3
	v_pack_b32_f16 v1, v2, v1
	v_lshrrev_b32_e32 v2, 16, v34
	s_waitcnt vmcnt(11)
	v_mul_f16_sdwa v3, v11, v2 dst_sel:DWORD dst_unused:UNUSED_PAD src0_sel:WORD_1 src1_sel:DWORD
	v_mul_f16_sdwa v4, v11, v34 dst_sel:DWORD dst_unused:UNUSED_PAD src0_sel:WORD_1 src1_sel:DWORD
	v_fma_f16 v3, v11, v34, v3
	v_fma_f16 v2, v11, v2, -v4
	v_pack_b32_f16 v2, v3, v2
	v_add_u32_e32 v3, 0x800, v18
	ds_write2_b32 v3, v1, v2 offset0:136 offset1:208
	s_waitcnt vmcnt(10)
	v_lshrrev_b32_e32 v1, 16, v14
	s_waitcnt vmcnt(9)
	v_mul_f16_sdwa v2, v15, v1 dst_sel:DWORD dst_unused:UNUSED_PAD src0_sel:WORD_1 src1_sel:DWORD
	v_mul_f16_sdwa v3, v15, v14 dst_sel:DWORD dst_unused:UNUSED_PAD src0_sel:WORD_1 src1_sel:DWORD
	v_fma_f16 v2, v15, v14, v2
	v_fma_f16 v1, v15, v1, -v3
	v_pack_b32_f16 v1, v2, v1
	s_waitcnt vmcnt(8)
	v_lshrrev_b32_e32 v2, 16, v17
	s_waitcnt vmcnt(7)
	v_mul_f16_sdwa v3, v36, v2 dst_sel:DWORD dst_unused:UNUSED_PAD src0_sel:WORD_1 src1_sel:DWORD
	v_mul_f16_sdwa v4, v36, v17 dst_sel:DWORD dst_unused:UNUSED_PAD src0_sel:WORD_1 src1_sel:DWORD
	v_fma_f16 v3, v36, v17, v3
	v_fma_f16 v2, v36, v2, -v4
	v_pack_b32_f16 v2, v3, v2
	v_add_u32_e32 v3, 0xc00, v18
	ds_write2_b32 v3, v1, v2 offset0:24 offset1:96
	s_waitcnt vmcnt(6)
	v_lshrrev_b32_e32 v1, 16, v37
	s_waitcnt vmcnt(4)
	v_mul_f16_sdwa v2, v39, v1 dst_sel:DWORD dst_unused:UNUSED_PAD src0_sel:WORD_1 src1_sel:DWORD
	v_mul_f16_sdwa v4, v39, v37 dst_sel:DWORD dst_unused:UNUSED_PAD src0_sel:WORD_1 src1_sel:DWORD
	v_fma_f16 v2, v39, v37, v2
	v_fma_f16 v1, v39, v1, -v4
	v_pack_b32_f16 v1, v2, v1
	v_lshrrev_b32_e32 v2, 16, v38
	s_waitcnt vmcnt(3)
	v_mul_f16_sdwa v4, v40, v2 dst_sel:DWORD dst_unused:UNUSED_PAD src0_sel:WORD_1 src1_sel:DWORD
	v_mul_f16_sdwa v5, v40, v38 dst_sel:DWORD dst_unused:UNUSED_PAD src0_sel:WORD_1 src1_sel:DWORD
	v_fma_f16 v4, v40, v38, v4
	v_fma_f16 v2, v40, v2, -v5
	v_pack_b32_f16 v2, v4, v2
	ds_write2_b32 v3, v1, v2 offset0:168 offset1:240
	s_waitcnt vmcnt(2)
	v_lshrrev_b32_e32 v1, 16, v7
	s_waitcnt vmcnt(1)
	v_mul_f16_sdwa v2, v41, v1 dst_sel:DWORD dst_unused:UNUSED_PAD src0_sel:WORD_1 src1_sel:DWORD
	v_mul_f16_sdwa v3, v41, v7 dst_sel:DWORD dst_unused:UNUSED_PAD src0_sel:WORD_1 src1_sel:DWORD
	v_fma_f16 v2, v41, v7, v2
	v_fma_f16 v1, v41, v1, -v3
	v_pack_b32_f16 v1, v2, v1
	s_waitcnt vmcnt(0)
	v_lshrrev_b32_e32 v2, 16, v0
	v_mul_f16_sdwa v3, v23, v2 dst_sel:DWORD dst_unused:UNUSED_PAD src0_sel:WORD_1 src1_sel:DWORD
	v_fma_f16 v3, v23, v0, v3
	v_mul_f16_sdwa v0, v23, v0 dst_sel:DWORD dst_unused:UNUSED_PAD src0_sel:WORD_1 src1_sel:DWORD
	v_fma_f16 v0, v23, v2, -v0
	v_pack_b32_f16 v0, v3, v0
	v_add_u32_e32 v2, 0x1000, v18
	ds_write2_b32 v2, v1, v0 offset0:56 offset1:128
.LBB0_3:
	s_or_b64 exec, exec, s[8:9]
	s_load_dwordx2 s[4:5], s[0:1], 0x20
	s_load_dwordx2 s[2:3], s[0:1], 0x8
	v_mov_b32_e32 v0, 0
	s_waitcnt lgkmcnt(0)
	s_barrier
	s_waitcnt lgkmcnt(0)
                                        ; implicit-def: $vgpr12
                                        ; implicit-def: $vgpr37
                                        ; implicit-def: $vgpr38
                                        ; implicit-def: $vgpr14
                                        ; implicit-def: $vgpr40
                                        ; implicit-def: $vgpr41
                                        ; implicit-def: $vgpr43
                                        ; implicit-def: $vgpr42
                                        ; implicit-def: $vgpr11
                                        ; implicit-def: $vgpr39
                                        ; implicit-def: $vgpr32
                                        ; implicit-def: $vgpr9
                                        ; implicit-def: $vgpr33
                                        ; implicit-def: $vgpr34
                                        ; implicit-def: $vgpr7
                                        ; implicit-def: $vgpr35
                                        ; implicit-def: $vgpr36
                                        ; implicit-def: $vgpr5
                                        ; implicit-def: $vgpr16
                                        ; implicit-def: $vgpr17
                                        ; implicit-def: $vgpr3
                                        ; implicit-def: $vgpr18
                                        ; implicit-def: $vgpr19
                                        ; implicit-def: $vgpr23
	s_and_saveexec_b64 s[0:1], vcc
	s_cbranch_execz .LBB0_5
; %bb.4:
	v_lshl_add_u32 v26, v30, 2, v22
	v_add_u32_e32 v6, 0x400, v26
	v_add_u32_e32 v8, 0x800, v26
	;; [unrolled: 1-line block ×5, first 2 shown]
	ds_read2_b32 v[0:1], v26 offset1:72
	ds_read2_b32 v[2:3], v26 offset0:144 offset1:216
	ds_read2_b32 v[4:5], v6 offset0:32 offset1:104
	;; [unrolled: 1-line block ×7, first 2 shown]
	ds_read_b32 v43, v26 offset:4608
	s_waitcnt lgkmcnt(8)
	v_lshrrev_b32_e32 v23, 16, v1
	s_waitcnt lgkmcnt(7)
	v_lshrrev_b32_e32 v19, 16, v2
	v_lshrrev_b32_e32 v18, 16, v3
	s_waitcnt lgkmcnt(6)
	v_lshrrev_b32_e32 v17, 16, v4
	;; [unrolled: 3-line block ×8, first 2 shown]
.LBB0_5:
	s_or_b64 exec, exec, s[0:1]
	v_sub_f16_e32 v93, v23, v42
	v_add_f16_e32 v62, v43, v1
	s_movk_i32 s8, 0x3b76
	v_mul_f16_e32 v44, 0xb5c8, v93
	v_sub_f16_e32 v105, v19, v41
	v_fma_f16 v26, v62, s8, v44
	s_movk_i32 s7, 0x39e9
	v_mul_f16_e32 v45, 0xb964, v93
	v_add_f16_e32 v64, v15, v2
	v_mul_f16_e32 v46, 0xb964, v105
	v_add_f16_e32 v26, v26, v0
	v_fma_f16 v27, v62, s7, v45
	s_movk_i32 s9, 0x2de8
	v_fma_f16 v28, v64, s7, v46
	v_mul_f16_e32 v47, 0xbbf7, v105
	v_sub_f16_e32 v111, v18, v40
	v_add_f16_e32 v27, v27, v0
	s_movk_i32 s6, 0x3722
	v_add_f16_e32 v26, v28, v26
	v_fma_f16 v28, v64, s9, v47
	v_add_f16_e32 v66, v14, v3
	v_mul_f16_e32 v48, 0xbb29, v111
	v_add_f16_e32 v27, v28, v27
	s_mov_b32 s16, 0xb8d2
	v_fma_f16 v28, v66, s6, v48
	v_mul_f16_e32 v55, 0xba62, v111
	v_sub_f16_e32 v115, v17, v38
	v_add_f16_e32 v26, v28, v26
	v_fma_f16 v28, v66, s16, v55
	v_add_f16_e32 v67, v13, v4
	v_mul_f16_e32 v49, 0xbbf7, v115
	s_mov_b32 s11, 0xbbdd
	v_add_f16_e32 v27, v28, v27
	v_fma_f16 v28, v67, s9, v49
	v_mul_f16_e32 v57, 0xb1e1, v115
	v_sub_f16_e32 v128, v16, v37
	s_mov_b32 s10, 0xb461
	v_add_f16_e32 v26, v28, v26
	v_fma_f16 v28, v67, s11, v57
	v_add_f16_e32 v68, v12, v5
	v_mul_f16_e32 v56, 0xbbb2, v128
	s_mov_b32 s17, 0xbacd
	v_add_f16_e32 v27, v28, v27
	v_fma_f16 v28, v68, s10, v56
	v_mul_f16_e32 v59, 0x3836, v128
	v_sub_f16_e32 v133, v36, v39
	v_add_f16_e32 v26, v28, v26
	v_fma_f16 v28, v68, s17, v59
	v_add_f16_e32 v70, v11, v6
	v_mul_f16_e32 v58, 0xba62, v133
	v_add_f16_e32 v27, v28, v27
	v_fma_f16 v28, v70, s16, v58
	v_mul_f16_e32 v61, 0x3bb2, v133
	v_sub_f16_e32 v141, v35, v32
	v_add_f16_e32 v26, v28, v26
	v_fma_f16 v28, v70, s10, v61
	v_add_f16_e32 v71, v10, v7
	v_mul_f16_e32 v60, 0xb836, v141
	;; [unrolled: 8-line block ×3, first 2 shown]
	v_add_f16_e32 v28, v28, v27
	v_fma_f16 v27, v74, s11, v63
	v_mul_f16_e32 v69, 0x35c8, v149
	v_add_f16_e32 v27, v27, v26
	v_fma_f16 v26, v74, s8, v69
	v_mul_f16_e32 v72, 0xbb29, v93
	;; [unrolled: 3-line block ×17, first 2 shown]
	v_sub_f16_e32 v147, v1, v43
	v_add_f16_e32 v29, v29, v28
	v_fma_f16 v28, v74, s7, v92
	v_add_f16_e32 v130, v42, v23
	v_mul_f16_e32 v75, 0xb5c8, v147
	v_sub_f16_e32 v150, v2, v15
	v_add_f16_e32 v28, v28, v31
	v_fma_f16 v31, v130, s8, -v75
	v_add_f16_e32 v122, v41, v19
	v_mul_f16_e32 v77, 0xb964, v150
	v_add_f16_sdwa v31, v31, v0 dst_sel:DWORD dst_unused:UNUSED_PAD src0_sel:DWORD src1_sel:WORD_1
	v_fma_f16 v50, v122, s7, -v77
	v_mul_f16_e32 v84, 0xb964, v147
	v_add_f16_e32 v31, v50, v31
	v_fma_f16 v50, v130, s7, -v84
	v_mul_f16_e32 v85, 0xbbf7, v150
	v_add_f16_sdwa v50, v50, v0 dst_sel:DWORD dst_unused:UNUSED_PAD src0_sel:DWORD src1_sel:WORD_1
	v_fma_f16 v51, v122, s9, -v85
	v_mul_f16_e32 v98, 0xbb29, v147
	v_add_f16_e32 v50, v51, v50
	v_fma_f16 v51, v130, s6, -v98
	;; [unrolled: 6-line block ×3, first 2 shown]
	v_mul_f16_e32 v116, 0xb1e1, v150
	v_add_f16_sdwa v52, v52, v0 dst_sel:DWORD dst_unused:UNUSED_PAD src0_sel:DWORD src1_sel:WORD_1
	v_fma_f16 v53, v122, s11, -v116
	v_mul_f16_e32 v135, 0xbbb2, v93
	v_add_f16_e32 v52, v53, v52
	v_fma_f16 v53, v62, s10, v135
	v_mul_f16_e32 v134, 0x3836, v105
	v_add_f16_e32 v53, v53, v0
	v_fma_f16 v54, v64, s17, v134
	v_mul_f16_e32 v144, 0xbbb2, v147
	v_add_f16_e32 v53, v54, v53
	v_fma_f16 v54, v130, s10, -v144
	v_mul_f16_e32 v145, 0x3836, v150
	v_add_f16_sdwa v54, v54, v0 dst_sel:DWORD dst_unused:UNUSED_PAD src0_sel:DWORD src1_sel:WORD_1
	v_fma_f16 v83, v122, s17, -v145
	v_sub_f16_e32 v154, v3, v14
	v_add_f16_e32 v54, v83, v54
	v_add_f16_e32 v125, v40, v18
	v_mul_f16_e32 v83, 0xbb29, v154
	v_fma_f16 v86, v125, s6, -v83
	v_mul_f16_e32 v96, 0xba62, v154
	v_add_f16_e32 v31, v86, v31
	v_fma_f16 v86, v125, s16, -v96
	v_mul_f16_e32 v102, 0x31e1, v154
	v_add_f16_e32 v50, v86, v50
	v_fma_f16 v86, v125, s11, -v102
	v_mul_f16_e32 v126, 0x3bb2, v154
	v_add_f16_e32 v51, v86, v51
	v_fma_f16 v86, v125, s10, -v126
	v_mul_f16_e32 v138, 0x3964, v111
	v_add_f16_e32 v52, v86, v52
	v_fma_f16 v86, v66, s7, v138
	v_mul_f16_e32 v148, 0x3964, v154
	v_add_f16_e32 v53, v86, v53
	v_fma_f16 v86, v125, s7, -v148
	v_sub_f16_e32 v157, v4, v13
	v_add_f16_e32 v54, v86, v54
	v_add_f16_e32 v123, v38, v17
	v_mul_f16_e32 v86, 0xbbf7, v157
	v_fma_f16 v97, v123, s9, -v86
	v_mul_f16_e32 v100, 0xb1e1, v157
	v_add_f16_e32 v31, v97, v31
	v_fma_f16 v97, v123, s11, -v100
	v_mul_f16_e32 v106, 0x3bb2, v157
	v_add_f16_e32 v50, v97, v50
	v_fma_f16 v97, v123, s10, -v106
	v_mul_f16_e32 v129, 0x35c8, v157
	v_add_f16_e32 v51, v97, v51
	v_fma_f16 v97, v123, s8, -v129
	v_mul_f16_e32 v140, 0xbb29, v115
	v_add_f16_e32 v52, v97, v52
	v_fma_f16 v97, v67, s6, v140
	v_mul_f16_e32 v152, 0xbb29, v157
	v_add_f16_e32 v53, v97, v53
	;; [unrolled: 20-line block ×4, first 2 shown]
	v_fma_f16 v104, v118, s9, -v155
	v_sub_f16_e32 v162, v7, v10
	v_add_f16_e32 v54, v104, v54
	v_add_f16_e32 v120, v32, v35
	v_mul_f16_e32 v104, 0xb836, v162
	v_fma_f16 v108, v120, s17, -v104
	v_mul_f16_e32 v110, 0x3b29, v162
	v_add_f16_e32 v31, v108, v31
	v_fma_f16 v108, v120, s6, -v110
	v_mul_f16_e32 v114, 0xbbf7, v162
	v_add_f16_e32 v121, v108, v50
	;; [unrolled: 3-line block ×4, first 2 shown]
	v_fma_f16 v50, v71, s8, v151
	v_mul_f16_e32 v158, 0xb5c8, v162
	v_sub_f16_e32 v163, v8, v9
	v_add_f16_e32 v137, v50, v53
	v_fma_f16 v50, v120, s8, -v158
	v_add_f16_e32 v124, v33, v34
	v_mul_f16_e32 v108, 0xb1e1, v163
	v_add_f16_e32 v54, v50, v54
	v_fma_f16 v50, v124, s11, -v108
	v_mul_f16_e32 v113, 0x35c8, v163
	v_add_f16_e32 v50, v50, v31
	v_fma_f16 v31, v124, s8, -v113
	v_add_f16_e32 v51, v31, v121
	v_mul_f16_e32 v121, 0xb836, v163
	v_fma_f16 v31, v124, s17, -v121
	v_mul_f16_e32 v142, 0x3964, v163
	v_add_f16_e32 v52, v31, v127
	v_fma_f16 v31, v124, s7, -v142
	v_mul_f16_e32 v159, 0xba62, v163
	v_add_f16_e32 v53, v31, v131
	;; [unrolled: 3-line block ×3, first 2 shown]
	v_fma_f16 v31, v74, s16, v156
	s_mov_b32 s20, 0xb5c8
	s_mov_b32 s18, 0xb964
	;; [unrolled: 1-line block ×7, first 2 shown]
	s_movk_i32 s33, 0x3836
	s_movk_i32 s34, 0x31e1
	;; [unrolled: 1-line block ×5, first 2 shown]
	s_mov_b32 s24, 0xb836
	s_movk_i32 s22, 0x3bf7
	s_movk_i32 s21, 0x3b29
	;; [unrolled: 1-line block ×3, first 2 shown]
	v_add_f16_e32 v31, v31, v137
	s_barrier
	s_and_saveexec_b64 s[0:1], vcc
	s_cbranch_execz .LBB0_7
; %bb.6:
	v_mul_f16_e32 v164, 0xb8d2, v130
	v_fma_f16 v127, v147, s29, v164
	v_mul_f16_e32 v165, 0xb461, v122
	v_add_f16_sdwa v127, v127, v0 dst_sel:DWORD dst_unused:UNUSED_PAD src0_sel:DWORD src1_sel:WORD_1
	v_fma_f16 v131, v150, s26, v165
	v_mul_f16_e32 v166, 0x3b76, v125
	v_add_f16_e32 v127, v131, v127
	v_fma_f16 v131, v154, s30, v166
	v_mul_f16_e32 v167, 0xbacd, v123
	v_add_f16_e32 v127, v131, v127
	;; [unrolled: 3-line block ×15, first 2 shown]
	v_fma_f16 v137, v147, s33, v180
	v_mul_f16_e32 v181, 0x3722, v122
	v_add_f16_sdwa v137, v137, v0 dst_sel:DWORD dst_unused:UNUSED_PAD src0_sel:DWORD src1_sel:WORD_1
	v_fma_f16 v182, v150, s31, v181
	v_add_f16_e32 v137, v182, v137
	v_mul_f16_e32 v182, 0x2de8, v125
	v_fma_f16 v183, v154, s22, v182
	v_add_f16_e32 v137, v183, v137
	v_mul_f16_e32 v183, 0xb8d2, v123
	;; [unrolled: 3-line block ×7, first 2 shown]
	v_fma_f16 v189, v62, s17, v188
	v_mul_f16_e32 v190, 0x3b29, v105
	v_add_f16_e32 v189, v189, v0
	v_fma_f16 v191, v64, s6, v190
	v_add_f16_e32 v189, v191, v189
	v_mul_f16_e32 v191, 0xbbf7, v111
	v_fma_f16 v192, v66, s9, v191
	v_add_f16_e32 v189, v192, v189
	v_mul_f16_e32 v192, 0x3a62, v115
	v_fma_f16 v193, v67, s16, v192
	v_add_f16_e32 v189, v193, v189
	v_mul_f16_e32 v193, 0xb5c8, v128
	v_fma_f16 v194, v68, s8, v193
	v_add_f16_e32 v189, v194, v189
	v_mul_f16_e32 v194, 0xb1e1, v133
	v_fma_f16 v195, v70, s11, v194
	v_add_f16_e32 v189, v195, v189
	v_mul_f16_e32 v195, 0x3964, v141
	v_fma_f16 v196, v71, s7, v195
	v_add_f16_e32 v189, v196, v189
	v_mul_f16_e32 v196, 0xbbb2, v149
	v_fma_f16 v197, v74, s10, v196
	v_add_f16_e32 v189, v197, v189
	v_mul_f16_e32 v197, 0xbbdd, v130
	v_fma_f16 v198, v147, s34, v197
	v_mul_f16_e32 v199, 0x3b76, v122
	v_add_f16_sdwa v198, v198, v0 dst_sel:DWORD dst_unused:UNUSED_PAD src0_sel:DWORD src1_sel:WORD_1
	v_fma_f16 v200, v150, s20, v199
	v_add_f16_e32 v198, v200, v198
	v_mul_f16_e32 v200, 0xbacd, v125
	v_fma_f16 v201, v154, s33, v200
	v_add_f16_e32 v198, v201, v198
	v_mul_f16_e32 v201, 0x39e9, v123
	;; [unrolled: 3-line block ×6, first 2 shown]
	v_fma_f16 v206, v163, s28, v205
	v_mul_f16_e32 v93, 0xb1e1, v93
	v_add_f16_e32 v198, v206, v198
	v_fma_f16 v206, v62, s11, v93
	v_mul_f16_e32 v105, 0x35c8, v105
	v_fma_f16 v93, v62, s11, -v93
	v_fma_f16 v207, v64, s8, v105
	v_mul_f16_e32 v111, 0xb836, v111
	v_add_f16_e32 v93, v93, v0
	v_fma_f16 v105, v64, s8, -v105
	v_mul_f16_e32 v115, 0x3964, v115
	v_add_f16_e32 v93, v105, v93
	v_fma_f16 v105, v66, s17, -v111
	;; [unrolled: 3-line block ×6, first 2 shown]
	v_add_f16_e32 v93, v105, v93
	v_fma_f16 v105, v74, s9, -v149
	v_add_f16_e32 v206, v206, v0
	v_add_f16_e32 v93, v105, v93
	v_fma_f16 v105, v147, s24, v180
	v_add_f16_e32 v206, v207, v206
	v_fma_f16 v207, v66, s17, v111
	v_add_f16_sdwa v105, v105, v0 dst_sel:DWORD dst_unused:UNUSED_PAD src0_sel:DWORD src1_sel:WORD_1
	v_fma_f16 v111, v150, s21, v181
	v_add_f16_e32 v105, v111, v105
	v_fma_f16 v111, v154, s28, v182
	v_add_f16_e32 v105, v111, v105
	;; [unrolled: 2-line block ×7, first 2 shown]
	v_fma_f16 v111, v62, s17, -v188
	v_add_f16_e32 v206, v207, v206
	v_fma_f16 v207, v67, s7, v115
	v_add_f16_e32 v111, v111, v0
	v_fma_f16 v115, v64, s6, -v190
	v_add_f16_e32 v111, v115, v111
	v_fma_f16 v115, v66, s9, -v191
	;; [unrolled: 2-line block ×7, first 2 shown]
	v_add_f16_e32 v111, v115, v111
	v_fma_f16 v115, v147, s23, v164
	v_add_f16_e32 v206, v207, v206
	v_fma_f16 v207, v68, s16, v128
	v_fma_f16 v128, v150, s25, v165
	v_add_f16_sdwa v115, v115, v0 dst_sel:DWORD dst_unused:UNUSED_PAD src0_sel:DWORD src1_sel:WORD_1
	v_add_f16_e32 v115, v128, v115
	v_fma_f16 v128, v154, s20, v166
	v_add_f16_e32 v115, v128, v115
	v_fma_f16 v128, v157, s24, v167
	v_add_f16_e32 v115, v128, v115
	v_fma_f16 v128, v160, s22, v168
	v_add_f16_e32 v115, v128, v115
	v_fma_f16 v128, v161, s18, v169
	v_add_f16_e32 v115, v128, v115
	v_fma_f16 v128, v162, s19, v170
	v_add_f16_e32 v115, v128, v115
	v_fma_f16 v128, v163, s21, v171
	v_add_f16_e32 v115, v128, v115
	v_fma_f16 v128, v62, s16, -v172
	v_add_f16_e32 v206, v207, v206
	v_fma_f16 v207, v70, s6, v133
	v_add_f16_e32 v128, v128, v0
	v_fma_f16 v133, v64, s10, -v173
	v_add_f16_e32 v128, v133, v128
	v_fma_f16 v133, v66, s8, -v174
	v_add_f16_e32 v128, v133, v128
	v_fma_f16 v133, v67, s17, -v175
	v_add_f16_e32 v128, v133, v128
	v_fma_f16 v133, v68, s9, -v176
	v_add_f16_e32 v128, v133, v128
	v_fma_f16 v133, v70, s7, -v177
	v_add_f16_e32 v128, v133, v128
	v_fma_f16 v133, v71, s11, -v178
	v_add_f16_e32 v206, v207, v206
	v_fma_f16 v207, v71, s10, v141
	v_add_f16_e32 v128, v133, v128
	v_fma_f16 v141, v74, s6, -v179
	v_add_f16_e32 v128, v141, v128
	v_mul_f16_e32 v141, 0xb461, v130
	v_add_f16_e32 v141, v144, v141
	v_mul_f16_e32 v144, 0xbacd, v122
	v_add_f16_e32 v144, v145, v144
	v_add_f16_sdwa v141, v141, v0 dst_sel:DWORD dst_unused:UNUSED_PAD src0_sel:DWORD src1_sel:WORD_1
	v_add_f16_e32 v141, v144, v141
	v_mul_f16_e32 v144, 0x39e9, v125
	v_add_f16_e32 v144, v148, v144
	v_add_f16_e32 v141, v144, v141
	v_mul_f16_e32 v144, 0x3722, v123
	v_add_f16_e32 v206, v207, v206
	v_fma_f16 v207, v74, s9, v149
	v_fma_f16 v197, v147, s19, v197
	v_mul_f16_e32 v133, 0x3b76, v62
	v_mul_f16_e32 v147, 0x39e9, v62
	v_add_f16_e32 v144, v152, v144
	v_mul_f16_e32 v149, 0x3722, v62
	v_mul_f16_e32 v152, 0x2de8, v62
	v_mul_f16_e32 v62, 0xb461, v62
	v_sub_f16_e32 v62, v62, v135
	v_mul_f16_e32 v135, 0xbacd, v64
	v_sub_f16_e32 v134, v135, v134
	v_add_f16_e32 v62, v62, v0
	v_add_f16_e32 v62, v134, v62
	v_mul_f16_e32 v134, 0x39e9, v66
	v_sub_f16_e32 v134, v134, v138
	v_add_f16_e32 v62, v134, v62
	v_mul_f16_e32 v134, 0x3722, v67
	v_add_f16_e32 v141, v144, v141
	v_mul_f16_e32 v144, 0xbbdd, v117
	v_sub_f16_e32 v134, v134, v140
	v_add_f16_e32 v144, v153, v144
	v_add_f16_e32 v62, v134, v62
	v_mul_f16_e32 v134, 0xbbdd, v68
	v_add_f16_e32 v141, v144, v141
	v_mul_f16_e32 v144, 0x2de8, v118
	v_sub_f16_e32 v134, v134, v143
	v_add_f16_e32 v144, v155, v144
	;; [unrolled: 6-line block ×3, first 2 shown]
	v_add_f16_e32 v62, v134, v62
	v_mul_f16_e32 v134, 0x3b76, v71
	v_add_f16_e32 v141, v144, v141
	v_mul_f16_e32 v144, 0xb8d2, v124
	v_sub_f16_e32 v134, v134, v151
	v_fma_f16 v199, v150, s30, v199
	v_mul_f16_e32 v145, 0x3b76, v130
	v_mul_f16_e32 v148, 0x39e9, v130
	;; [unrolled: 1-line block ×4, first 2 shown]
	v_add_f16_e32 v144, v159, v144
	v_add_f16_e32 v62, v134, v62
	v_mul_f16_e32 v134, 0xb8d2, v74
	v_add_f16_e32 v141, v144, v141
	v_mul_f16_e32 v144, 0x39e9, v122
	v_mul_f16_e32 v138, 0x2de8, v122
	v_mul_f16_e32 v143, 0xb8d2, v122
	v_mul_f16_e32 v122, 0xbbdd, v122
	v_sub_f16_e32 v134, v134, v156
	v_add_f16_e32 v119, v119, v130
	v_mul_f16_e32 v151, 0x3722, v125
	v_add_f16_e32 v62, v134, v62
	v_mul_f16_e32 v134, 0xb8d2, v125
	;; [unrolled: 2-line block ×3, first 2 shown]
	v_mul_f16_e32 v125, 0xb461, v125
	v_add_f16_sdwa v119, v119, v0 dst_sel:DWORD dst_unused:UNUSED_PAD src0_sel:DWORD src1_sel:WORD_1
	v_add_f16_e32 v116, v116, v119
	v_add_f16_e32 v125, v126, v125
	;; [unrolled: 1-line block ×3, first 2 shown]
	v_mul_f16_e32 v125, 0x3b76, v123
	v_add_f16_e32 v125, v129, v125
	v_add_f16_e32 v116, v125, v116
	v_mul_f16_e32 v125, 0x3722, v117
	v_add_f16_e32 v125, v132, v125
	v_add_f16_e32 v116, v125, v116
	;; [unrolled: 3-line block ×3, first 2 shown]
	v_mul_f16_e32 v125, 0xb8d2, v120
	v_add_f16_sdwa v197, v197, v0 dst_sel:DWORD dst_unused:UNUSED_PAD src0_sel:DWORD src1_sel:WORD_1
	v_mul_f16_e32 v153, 0x39e9, v64
	v_mul_f16_e32 v135, 0x2de8, v64
	;; [unrolled: 1-line block ×4, first 2 shown]
	v_add_f16_e32 v125, v139, v125
	v_sub_f16_e32 v95, v152, v95
	v_add_f16_e32 v197, v199, v197
	v_fma_f16 v199, v154, s24, v200
	v_mul_f16_e32 v146, 0x3722, v66
	v_mul_f16_e32 v154, 0xb8d2, v66
	v_mul_f16_e32 v130, 0xbbdd, v66
	v_mul_f16_e32 v66, 0xb461, v66
	v_add_f16_e32 v116, v125, v116
	v_mul_f16_e32 v125, 0x39e9, v124
	v_sub_f16_e32 v64, v64, v94
	v_add_f16_e32 v95, v95, v0
	v_mul_f16_e32 v119, 0x2de8, v67
	v_mul_f16_e32 v129, 0xbbdd, v67
	;; [unrolled: 1-line block ×4, first 2 shown]
	v_add_f16_e32 v125, v142, v125
	v_add_f16_e32 v64, v64, v95
	v_sub_f16_e32 v66, v66, v91
	v_mul_f16_e32 v139, 0xb461, v68
	v_add_f16_e32 v116, v125, v116
	v_mul_f16_e32 v125, 0xbacd, v68
	v_mul_f16_e32 v94, 0x39e9, v68
	;; [unrolled: 1-line block ×3, first 2 shown]
	v_add_f16_e32 v64, v66, v64
	v_sub_f16_e32 v67, v67, v90
	v_sub_f16_e32 v72, v149, v72
	;; [unrolled: 1-line block ×3, first 2 shown]
	v_mul_f16_e32 v95, 0xb8d2, v70
	v_mul_f16_e32 v66, 0xb461, v70
	v_add_f16_e32 v64, v67, v64
	v_mul_f16_e32 v67, 0x3b76, v70
	v_mul_f16_e32 v70, 0xbacd, v70
	v_sub_f16_e32 v68, v68, v88
	v_add_f16_e32 v72, v72, v0
	v_sub_f16_e32 v73, v140, v73
	v_add_f16_e32 v45, v45, v0
	;; [unrolled: 2-line block ×6, first 2 shown]
	v_mul_f16_e32 v70, 0xb8d2, v71
	v_add_f16_e32 v72, v73, v72
	v_sub_f16_e32 v73, v136, v78
	v_add_f16_e32 v45, v47, v45
	v_sub_f16_e32 v47, v129, v57
	v_sub_f16_e32 v70, v70, v87
	v_add_f16_e32 v72, v73, v72
	v_sub_f16_e32 v73, v94, v79
	v_add_f16_e32 v45, v47, v45
	v_sub_f16_e32 v47, v125, v59
	v_mul_f16_e32 v88, 0xbacd, v71
	v_mul_f16_e32 v89, 0x3722, v71
	;; [unrolled: 1-line block ×3, first 2 shown]
	v_add_f16_e32 v64, v70, v64
	v_mul_f16_e32 v70, 0x39e9, v74
	v_add_f16_e32 v72, v73, v72
	v_sub_f16_e32 v67, v67, v80
	v_add_f16_e32 v45, v47, v45
	v_sub_f16_e32 v47, v66, v61
	v_sub_f16_e32 v70, v70, v92
	v_mul_f16_e32 v92, 0xbbdd, v74
	v_add_f16_e32 v98, v98, v150
	v_mul_f16_e32 v150, 0x3b76, v74
	v_mul_f16_e32 v74, 0xbacd, v74
	v_add_f16_e32 v67, v67, v72
	v_sub_f16_e32 v71, v71, v81
	v_add_f16_e32 v45, v47, v45
	v_sub_f16_e32 v47, v89, v65
	;; [unrolled: 2-line block ×4, first 2 shown]
	v_add_f16_e32 v67, v71, v67
	v_add_f16_e32 v71, v84, v148
	;; [unrolled: 1-line block ×4, first 2 shown]
	v_sub_f16_e32 v44, v133, v44
	v_add_f16_sdwa v98, v98, v0 dst_sel:DWORD dst_unused:UNUSED_PAD src0_sel:DWORD src1_sel:WORD_1
	v_add_f16_sdwa v71, v71, v0 dst_sel:DWORD dst_unused:UNUSED_PAD src0_sel:DWORD src1_sel:WORD_1
	;; [unrolled: 1-line block ×3, first 2 shown]
	v_add_f16_e32 v44, v44, v0
	v_add_f16_e32 v1, v1, v0
	v_add_f16_sdwa v0, v23, v0 dst_sel:DWORD dst_unused:UNUSED_PAD src0_sel:DWORD src1_sel:WORD_1
	v_add_f16_e32 v1, v2, v1
	v_add_f16_e32 v0, v19, v0
	;; [unrolled: 1-line block ×15, first 2 shown]
	v_sub_f16_e32 v46, v153, v46
	v_add_f16_e32 v1, v9, v1
	v_add_f16_e32 v0, v33, v0
	v_mul_f16_e32 v126, 0x2de8, v123
	v_add_f16_e32 v99, v99, v143
	v_add_f16_e32 v72, v85, v138
	v_add_f16_e32 v47, v55, v47
	v_add_f16_e32 v55, v83, v151
	v_add_f16_e32 v44, v46, v44
	v_sub_f16_e32 v46, v146, v48
	v_add_f16_e32 v1, v10, v1
	v_add_f16_e32 v0, v32, v0
	v_mul_f16_e32 v132, 0xbbdd, v123
	v_mul_f16_e32 v123, 0xb461, v123
	v_mul_f16_e32 v142, 0xb461, v117
	v_add_f16_e32 v98, v99, v98
	v_add_f16_e32 v99, v102, v122
	v_add_f16_e32 v71, v72, v71
	v_add_f16_e32 v72, v96, v134
	v_add_f16_e32 v47, v55, v47
	v_add_f16_e32 v55, v86, v126
	v_add_f16_e32 v44, v46, v44
	v_sub_f16_e32 v46, v119, v49
	v_add_f16_e32 v1, v11, v1
	v_add_f16_e32 v0, v39, v0
	v_mul_f16_e32 v152, 0xbacd, v117
	v_mul_f16_e32 v117, 0x39e9, v117
	v_mul_f16_e32 v91, 0xb8d2, v118
	v_add_f16_e32 v98, v99, v98
	v_add_f16_e32 v99, v106, v123
	;; [unrolled: 13-line block ×3, first 2 shown]
	v_add_f16_e32 v71, v72, v71
	v_add_f16_e32 v72, v103, v152
	;; [unrolled: 1-line block ×5, first 2 shown]
	v_sub_f16_e32 v46, v95, v58
	v_add_f16_e32 v1, v13, v1
	v_add_f16_e32 v0, v38, v0
	v_mul_f16_e32 v87, 0x3722, v120
	v_mul_f16_e32 v120, 0x2de8, v120
	v_add_f16_e32 v64, v70, v64
	v_mul_f16_e32 v70, 0xbbdd, v124
	v_add_f16_e32 v98, v99, v98
	v_add_f16_e32 v99, v112, v118
	;; [unrolled: 1-line block ×7, first 2 shown]
	v_sub_f16_e32 v46, v88, v60
	v_add_f16_e32 v1, v14, v1
	v_add_f16_e32 v0, v40, v0
	;; [unrolled: 1-line block ×3, first 2 shown]
	v_fma_f16 v199, v157, s27, v201
	v_mul_f16_e32 v143, 0x3b76, v124
	v_mul_f16_e32 v124, 0xbacd, v124
	v_add_f16_e32 v98, v99, v98
	v_add_f16_e32 v99, v114, v120
	;; [unrolled: 1-line block ×7, first 2 shown]
	v_sub_f16_e32 v46, v92, v63
	v_add_f16_e32 v1, v15, v1
	v_add_f16_e32 v0, v41, v0
	;; [unrolled: 1-line block ×3, first 2 shown]
	v_fma_f16 v199, v160, s23, v202
	v_add_f16_e32 v98, v99, v98
	v_add_f16_e32 v99, v121, v124
	;; [unrolled: 1-line block ×8, first 2 shown]
	v_mul_lo_u16_e32 v2, 17, v20
	v_add_f16_e32 v197, v199, v197
	v_fma_f16 v199, v161, s21, v203
	v_add_f16_e32 v98, v99, v98
	v_add_f16_e32 v71, v72, v71
	v_add_lshl_u32 v2, v30, v2, 2
	v_pack_b32_f16 v3, v44, v47
	v_pack_b32_f16 v0, v1, v0
	v_add_f16_e32 v197, v199, v197
	v_fma_f16 v199, v162, s26, v204
	ds_write2_b32 v2, v0, v3 offset1:1
	v_pack_b32_f16 v0, v67, v98
	v_pack_b32_f16 v1, v45, v71
	v_add_f16_e32 v197, v199, v197
	v_fma_f16 v199, v163, s22, v205
	ds_write2_b32 v2, v1, v0 offset0:2 offset1:3
	v_pack_b32_f16 v0, v62, v141
	v_pack_b32_f16 v1, v64, v116
	v_add_f16_e32 v206, v207, v206
	v_add_f16_e32 v197, v199, v197
	ds_write2_b32 v2, v1, v0 offset0:4 offset1:5
	v_pack_b32_f16 v0, v111, v105
	v_pack_b32_f16 v1, v128, v115
	ds_write2_b32 v2, v1, v0 offset0:6 offset1:7
	v_pack_b32_f16 v0, v206, v198
	v_pack_b32_f16 v1, v93, v197
	;; [unrolled: 3-line block ×3, first 2 shown]
	s_mov_b32 s6, 0x5040100
	ds_write2_b32 v2, v1, v0 offset0:10 offset1:11
	v_perm_b32 v0, v53, v28, s6
	v_perm_b32 v1, v54, v31, s6
	ds_write2_b32 v2, v1, v0 offset0:12 offset1:13
	v_perm_b32 v0, v51, v26, s6
	v_perm_b32 v1, v52, v29, s6
	ds_write2_b32 v2, v1, v0 offset0:14 offset1:15
	v_perm_b32 v0, v50, v27, s6
	ds_write_b32 v2, v0 offset:64
.LBB0_7:
	s_or_b64 exec, exec, s[0:1]
	s_mov_b64 s[0:1], 0xcc
	s_load_dwordx4 s[8:11], s[4:5], 0x0
	v_lshl_add_u64 v[0:1], v[20:21], 0, s[0:1]
	s_movk_i32 s4, 0xf1
	v_mul_lo_u16_sdwa v1, v20, s4 dst_sel:DWORD dst_unused:UNUSED_PAD src0_sel:BYTE_0 src1_sel:DWORD
	v_lshrrev_b16_e32 v1, 12, v1
	v_mul_lo_u16_e32 v2, 17, v1
	v_add_u16_e32 v16, 0x66, v20
	v_sub_u16_e32 v14, v20, v2
	v_mov_b32_e32 v2, 3
	v_mul_lo_u16_sdwa v4, v16, s4 dst_sel:DWORD dst_unused:UNUSED_PAD src0_sel:BYTE_0 src1_sel:DWORD
	v_lshlrev_b32_sdwa v3, v2, v14 dst_sel:DWORD dst_unused:UNUSED_PAD src0_sel:DWORD src1_sel:BYTE_0
	v_lshrrev_b16_e32 v17, 12, v4
	s_waitcnt lgkmcnt(0)
	s_barrier
	global_load_dwordx2 v[34:35], v3, s[2:3]
	v_mul_lo_u16_e32 v3, 17, v17
	v_sub_u16_e32 v18, v16, v3
	s_mov_b64 s[0:1], 0x132
	v_lshlrev_b32_sdwa v2, v2, v18 dst_sel:DWORD dst_unused:UNUSED_PAD src0_sel:DWORD src1_sel:BYTE_0
	global_load_dwordx2 v[32:33], v2, s[2:3]
	v_lshl_add_u64 v[2:3], v[20:21], 0, s[0:1]
	s_mov_b32 s0, 0xf0f1
	v_mul_u32_u24_sdwa v3, v0, s0 dst_sel:DWORD dst_unused:UNUSED_PAD src0_sel:WORD_0 src1_sel:DWORD
	v_mul_u32_u24_sdwa v4, v2, s0 dst_sel:DWORD dst_unused:UNUSED_PAD src0_sel:WORD_0 src1_sel:DWORD
	v_lshrrev_b32_e32 v19, 20, v3
	v_lshrrev_b32_e32 v40, 20, v4
	v_mul_lo_u16_e32 v3, 17, v19
	v_mul_lo_u16_e32 v4, 17, v40
	v_sub_u16_e32 v23, v0, v3
	v_sub_u16_e32 v41, v2, v4
	v_lshlrev_b16_e32 v3, 1, v23
	v_lshlrev_b16_e32 v2, 1, v41
	v_lshlrev_b32_e32 v3, 2, v3
	v_lshlrev_b32_e32 v2, 2, v2
	global_load_dwordx2 v[38:39], v3, s[2:3]
	global_load_dwordx2 v[36:37], v2, s[2:3]
	v_add_lshl_u32 v15, v30, v20, 2
	v_add_u32_e32 v46, 0x400, v15
	ds_read2_b32 v[2:3], v15 offset1:102
	v_add_u32_e32 v48, 0xc00, v15
	v_add_u32_e32 v47, 0x200, v15
	;; [unrolled: 1-line block ×4, first 2 shown]
	ds_read2_b32 v[4:5], v46 offset0:152 offset1:254
	ds_read2_b32 v[6:7], v48 offset0:48 offset1:150
	;; [unrolled: 1-line block ×5, first 2 shown]
	s_waitcnt lgkmcnt(4)
	v_lshrrev_b32_e32 v43, 16, v4
	v_lshrrev_b32_e32 v45, 16, v5
	s_waitcnt lgkmcnt(3)
	v_lshrrev_b32_e32 v44, 16, v6
	s_waitcnt lgkmcnt(1)
	v_lshrrev_b32_e32 v57, 16, v10
	v_lshrrev_b32_e32 v60, 16, v11
	s_waitcnt lgkmcnt(0)
	v_lshrrev_b32_e32 v61, 16, v13
	v_lshrrev_b32_e32 v58, 16, v12
	;; [unrolled: 1-line block ×3, first 2 shown]
	s_movk_i32 s5, 0x3aee
	s_mov_b32 s4, 0xbaee
	v_lshrrev_b32_e32 v55, 16, v7
	v_lshrrev_b32_e32 v42, 16, v3
	;; [unrolled: 1-line block ×4, first 2 shown]
	v_mul_u32_u24_e32 v1, 51, v1
	v_add_u32_sdwa v1, v1, v14 dst_sel:DWORD dst_unused:UNUSED_PAD src0_sel:DWORD src1_sel:BYTE_0
	s_barrier
	v_cmp_gt_u16_e64 s[0:1], 51, v20
	s_movk_i32 s6, 0xcc
	s_waitcnt vmcnt(3)
	v_mul_f16_sdwa v62, v43, v34 dst_sel:DWORD dst_unused:UNUSED_PAD src0_sel:DWORD src1_sel:WORD_1
	v_mul_f16_sdwa v64, v4, v34 dst_sel:DWORD dst_unused:UNUSED_PAD src0_sel:DWORD src1_sel:WORD_1
	v_fma_f16 v4, v4, v34, -v62
	v_mul_f16_sdwa v65, v44, v35 dst_sel:DWORD dst_unused:UNUSED_PAD src0_sel:DWORD src1_sel:WORD_1
	v_fma_f16 v43, v43, v34, v64
	s_waitcnt vmcnt(2)
	v_mul_f16_sdwa v67, v45, v32 dst_sel:DWORD dst_unused:UNUSED_PAD src0_sel:DWORD src1_sel:WORD_1
	v_mul_f16_sdwa v68, v5, v32 dst_sel:DWORD dst_unused:UNUSED_PAD src0_sel:DWORD src1_sel:WORD_1
	v_fma_f16 v5, v5, v32, -v67
	v_mul_f16_sdwa v66, v6, v35 dst_sel:DWORD dst_unused:UNUSED_PAD src0_sel:DWORD src1_sel:WORD_1
	v_fma_f16 v6, v6, v35, -v65
	v_fma_f16 v44, v44, v35, v66
	v_mul_f16_sdwa v69, v55, v33 dst_sel:DWORD dst_unused:UNUSED_PAD src0_sel:DWORD src1_sel:WORD_1
	v_mul_f16_sdwa v70, v7, v33 dst_sel:DWORD dst_unused:UNUSED_PAD src0_sel:DWORD src1_sel:WORD_1
	v_fma_f16 v7, v7, v33, -v69
	v_fma_f16 v45, v45, v32, v68
	v_fma_f16 v55, v55, v33, v70
	s_waitcnt vmcnt(1)
	v_mul_f16_sdwa v62, v57, v38 dst_sel:DWORD dst_unused:UNUSED_PAD src0_sel:DWORD src1_sel:WORD_1
	s_waitcnt vmcnt(0)
	v_mul_f16_sdwa v67, v60, v36 dst_sel:DWORD dst_unused:UNUSED_PAD src0_sel:DWORD src1_sel:WORD_1
	v_mul_f16_sdwa v64, v10, v38 dst_sel:DWORD dst_unused:UNUSED_PAD src0_sel:DWORD src1_sel:WORD_1
	v_fma_f16 v10, v10, v38, -v62
	v_fma_f16 v62, v11, v36, -v67
	v_mul_f16_sdwa v11, v11, v36 dst_sel:DWORD dst_unused:UNUSED_PAD src0_sel:DWORD src1_sel:WORD_1
	v_fma_f16 v11, v60, v36, v11
	v_mul_f16_sdwa v60, v61, v37 dst_sel:DWORD dst_unused:UNUSED_PAD src0_sel:DWORD src1_sel:WORD_1
	v_fma_f16 v57, v57, v38, v64
	v_fma_f16 v60, v13, v37, -v60
	v_mul_f16_sdwa v13, v13, v37 dst_sel:DWORD dst_unused:UNUSED_PAD src0_sel:DWORD src1_sel:WORD_1
	v_add_f16_e32 v64, v4, v6
	v_mul_f16_sdwa v65, v58, v39 dst_sel:DWORD dst_unused:UNUSED_PAD src0_sel:DWORD src1_sel:WORD_1
	v_fma_f16 v13, v61, v37, v13
	v_add_f16_e32 v61, v2, v4
	v_fma_f16 v2, v64, -0.5, v2
	v_sub_f16_e32 v64, v43, v44
	v_mul_f16_sdwa v66, v12, v39 dst_sel:DWORD dst_unused:UNUSED_PAD src0_sel:DWORD src1_sel:WORD_1
	v_fma_f16 v12, v12, v39, -v65
	v_fma_f16 v65, v64, s5, v2
	v_fma_f16 v2, v64, s4, v2
	v_add_f16_e32 v64, v21, v43
	v_add_f16_e32 v43, v43, v44
	v_fma_f16 v21, v43, -0.5, v21
	v_sub_f16_e32 v4, v4, v6
	v_add_f16_e32 v61, v61, v6
	v_fma_f16 v6, v4, s4, v21
	v_fma_f16 v4, v4, s5, v21
	v_add_f16_e32 v21, v3, v5
	v_add_f16_e32 v43, v21, v7
	;; [unrolled: 1-line block ×3, first 2 shown]
	v_fma_f16 v3, v21, -0.5, v3
	v_sub_f16_e32 v21, v45, v55
	v_add_f16_e32 v64, v64, v44
	v_fma_f16 v44, v21, s5, v3
	v_fma_f16 v3, v21, s4, v3
	v_add_f16_e32 v21, v42, v45
	v_fma_f16 v58, v58, v39, v66
	v_add_f16_e32 v66, v21, v55
	v_add_f16_e32 v21, v45, v55
	v_fma_f16 v21, v21, -0.5, v42
	v_sub_f16_e32 v5, v5, v7
	v_fma_f16 v7, v5, s4, v21
	v_fma_f16 v5, v5, s5, v21
	v_add_f16_e32 v21, v8, v10
	v_add_f16_e32 v42, v21, v12
	v_add_f16_e32 v21, v10, v12
	v_fma_f16 v8, v21, -0.5, v8
	v_sub_f16_e32 v21, v57, v58
	v_fma_f16 v45, v21, s5, v8
	v_fma_f16 v8, v21, s4, v8
	v_add_f16_e32 v21, v56, v57
	;; [unrolled: 7-line block ×4, first 2 shown]
	v_add_f16_e32 v69, v21, v13
	v_add_lshl_u32 v21, v30, v1, 2
	v_pack_b32_f16 v1, v61, v64
	v_pack_b32_f16 v6, v65, v6
	ds_write2_b32 v21, v1, v6 offset1:17
	v_pack_b32_f16 v1, v2, v4
	ds_write_b32 v21, v1 offset:136
	v_mul_u32_u24_e32 v1, 51, v17
	v_add_u32_sdwa v1, v1, v18 dst_sel:DWORD dst_unused:UNUSED_PAD src0_sel:DWORD src1_sel:BYTE_0
	v_add_lshl_u32 v55, v30, v1, 2
	v_pack_b32_f16 v1, v43, v66
	v_pack_b32_f16 v2, v44, v7
	ds_write2_b32 v55, v1, v2 offset1:17
	v_pack_b32_f16 v1, v3, v5
	ds_write_b32 v55, v1 offset:136
	v_mad_legacy_u16 v1, v19, 51, v23
	v_add_f16_e32 v11, v11, v13
	v_add_lshl_u32 v56, v30, v1, 2
	v_pack_b32_f16 v1, v42, v67
	v_pack_b32_f16 v2, v45, v12
	v_fma_f16 v11, v11, -0.5, v59
	v_sub_f16_e32 v13, v62, v60
	ds_write2_b32 v56, v1, v2 offset1:17
	v_pack_b32_f16 v1, v8, v10
	v_fma_f16 v59, v13, s4, v11
	ds_write_b32 v56, v1 offset:136
	v_mad_legacy_u16 v1, v40, 51, v41
	v_fma_f16 v11, v13, s5, v11
	v_add_lshl_u32 v57, v30, v1, 2
	v_pack_b32_f16 v1, v58, v69
	v_pack_b32_f16 v2, v68, v59
	ds_write2_b32 v57, v1, v2 offset1:17
	v_pack_b32_f16 v1, v9, v11
	ds_write_b32 v57, v1 offset:136
	v_subrev_u32_e32 v1, 51, v20
	v_cndmask_b32_e64 v11, v1, v20, s[0:1]
	v_mul_hi_i32_i24_e32 v3, 12, v11
	v_mul_i32_i24_e32 v2, 12, v11
	s_movk_i32 s0, 0xa1
	v_lshl_add_u64 v[2:3], s[2:3], 0, v[2:3]
	v_mul_lo_u16_sdwa v1, v16, s0 dst_sel:DWORD dst_unused:UNUSED_PAD src0_sel:BYTE_0 src1_sel:DWORD
	s_waitcnt lgkmcnt(0)
	s_barrier
	global_load_dwordx3 v[8:10], v[2:3], off offset:136
	v_lshrrev_b16_e32 v23, 13, v1
	v_mul_lo_u16_e32 v1, 51, v23
	v_sub_u16_e32 v1, v16, v1
	v_and_b32_e32 v44, 0xff, v1
	v_mad_u64_u32 v[2:3], s[0:1], v44, 12, s[2:3]
	s_mov_b32 s0, 0xa0a1
	global_load_dwordx3 v[12:14], v[2:3], off offset:136
	v_mul_u32_u24_sdwa v1, v0, s0 dst_sel:DWORD dst_unused:UNUSED_PAD src0_sel:WORD_0 src1_sel:DWORD
	v_lshrrev_b32_e32 v45, 21, v1
	v_mul_lo_u16_e32 v1, 51, v45
	v_sub_u16_e32 v60, v0, v1
	v_mul_lo_u16_e32 v18, 12, v60
	v_mov_b32_e32 v19, 0
	v_lshl_add_u64 v[0:1], s[2:3], 0, v[18:19]
	global_load_dwordx3 v[16:18], v[0:1], off offset:136
	ds_read2_b32 v[0:1], v15 offset1:102
	ds_read2_b32 v[2:3], v47 offset0:76 offset1:178
	ds_read2_b32 v[4:5], v49 offset0:100 offset1:202
	;; [unrolled: 1-line block ×5, first 2 shown]
	s_waitcnt lgkmcnt(4)
	v_lshrrev_b32_e32 v59, 16, v3
	s_waitcnt lgkmcnt(3)
	v_lshrrev_b32_e32 v61, 16, v4
	;; [unrolled: 2-line block ×4, first 2 shown]
	v_lshrrev_b32_e32 v66, 16, v5
	s_waitcnt lgkmcnt(0)
	v_lshrrev_b32_e32 v67, 16, v42
	v_lshrrev_b32_e32 v69, 16, v41
	v_lshrrev_b32_e32 v70, 16, v6
	v_lshrrev_b32_e32 v58, 16, v0
	v_lshrrev_b32_e32 v71, 16, v43
	v_lshrrev_b32_e32 v64, 16, v1
	v_lshrrev_b32_e32 v68, 16, v2
	v_cmp_lt_u16_e64 s[0:1], 50, v20
	s_barrier
	s_waitcnt vmcnt(2)
	v_mul_f16_sdwa v72, v59, v8 dst_sel:DWORD dst_unused:UNUSED_PAD src0_sel:DWORD src1_sel:WORD_1
	v_fma_f16 v72, v3, v8, -v72
	v_mul_f16_sdwa v3, v3, v8 dst_sel:DWORD dst_unused:UNUSED_PAD src0_sel:DWORD src1_sel:WORD_1
	v_fma_f16 v3, v59, v8, v3
	v_mul_f16_sdwa v59, v61, v9 dst_sel:DWORD dst_unused:UNUSED_PAD src0_sel:DWORD src1_sel:WORD_1
	v_fma_f16 v59, v4, v9, -v59
	v_mul_f16_sdwa v4, v4, v9 dst_sel:DWORD dst_unused:UNUSED_PAD src0_sel:DWORD src1_sel:WORD_1
	v_fma_f16 v4, v61, v9, v4
	;; [unrolled: 4-line block ×3, first 2 shown]
	s_waitcnt vmcnt(1)
	v_mul_f16_sdwa v62, v65, v12 dst_sel:DWORD dst_unused:UNUSED_PAD src0_sel:DWORD src1_sel:WORD_1
	v_fma_f16 v62, v40, v12, -v62
	v_mul_f16_sdwa v40, v40, v12 dst_sel:DWORD dst_unused:UNUSED_PAD src0_sel:DWORD src1_sel:WORD_1
	v_fma_f16 v40, v65, v12, v40
	v_mul_f16_sdwa v65, v66, v13 dst_sel:DWORD dst_unused:UNUSED_PAD src0_sel:DWORD src1_sel:WORD_1
	v_fma_f16 v65, v5, v13, -v65
	v_mul_f16_sdwa v5, v5, v13 dst_sel:DWORD dst_unused:UNUSED_PAD src0_sel:DWORD src1_sel:WORD_1
	v_fma_f16 v5, v66, v13, v5
	;; [unrolled: 4-line block ×3, first 2 shown]
	s_waitcnt vmcnt(0)
	v_mul_f16_sdwa v67, v69, v16 dst_sel:DWORD dst_unused:UNUSED_PAD src0_sel:DWORD src1_sel:WORD_1
	v_fma_f16 v67, v41, v16, -v67
	v_mul_f16_sdwa v41, v41, v16 dst_sel:DWORD dst_unused:UNUSED_PAD src0_sel:DWORD src1_sel:WORD_1
	v_fma_f16 v41, v69, v16, v41
	v_mul_f16_sdwa v69, v70, v17 dst_sel:DWORD dst_unused:UNUSED_PAD src0_sel:DWORD src1_sel:WORD_1
	v_fma_f16 v69, v6, v17, -v69
	v_mul_f16_sdwa v6, v6, v17 dst_sel:DWORD dst_unused:UNUSED_PAD src0_sel:DWORD src1_sel:WORD_1
	v_sub_f16_e32 v4, v58, v4
	v_sub_f16_e32 v7, v3, v7
	v_fma_f16 v6, v70, v17, v6
	v_mul_f16_sdwa v70, v71, v18 dst_sel:DWORD dst_unused:UNUSED_PAD src0_sel:DWORD src1_sel:WORD_1
	v_fma_f16 v58, v58, 2.0, -v4
	v_fma_f16 v3, v3, 2.0, -v7
	v_fma_f16 v70, v43, v18, -v70
	v_mul_f16_sdwa v43, v43, v18 dst_sel:DWORD dst_unused:UNUSED_PAD src0_sel:DWORD src1_sel:WORD_1
	v_sub_f16_e32 v61, v72, v61
	v_sub_f16_e32 v3, v58, v3
	v_fma_f16 v43, v71, v18, v43
	v_fma_f16 v71, v72, 2.0, -v61
	v_fma_f16 v72, v58, 2.0, -v3
	v_sub_f16_e32 v58, v1, v65
	v_sub_f16_e32 v42, v40, v42
	v_fma_f16 v40, v40, 2.0, -v42
	v_sub_f16_e32 v42, v58, v42
	v_fma_f16 v1, v1, 2.0, -v58
	v_sub_f16_e32 v65, v62, v66
	v_fma_f16 v66, v58, 2.0, -v42
	v_sub_f16_e32 v58, v2, v69
	v_sub_f16_e32 v43, v41, v43
	;; [unrolled: 1-line block ×3, first 2 shown]
	v_fma_f16 v41, v41, 2.0, -v43
	v_sub_f16_e32 v43, v58, v43
	v_fma_f16 v0, v0, 2.0, -v59
	v_fma_f16 v2, v2, 2.0, -v58
	v_sub_f16_e32 v69, v67, v70
	v_fma_f16 v70, v58, 2.0, -v43
	v_mov_b32_e32 v58, 0xcc
	v_sub_f16_e32 v71, v0, v71
	v_sub_f16_e32 v7, v59, v7
	v_add_f16_e32 v61, v4, v61
	v_cndmask_b32_e64 v58, 0, v58, s[0:1]
	v_fma_f16 v0, v0, 2.0, -v71
	v_fma_f16 v59, v59, 2.0, -v7
	;; [unrolled: 1-line block ×3, first 2 shown]
	v_add_u32_e32 v11, v11, v58
	v_sub_f16_e32 v5, v64, v5
	v_add_lshl_u32 v58, v30, v11, 2
	v_pack_b32_f16 v0, v0, v72
	v_pack_b32_f16 v4, v59, v4
	v_fma_f16 v64, v64, 2.0, -v5
	v_fma_f16 v62, v62, 2.0, -v65
	ds_write2_b32 v58, v0, v4 offset1:51
	v_pack_b32_f16 v0, v71, v3
	v_pack_b32_f16 v3, v7, v61
	v_sub_f16_e32 v62, v1, v62
	v_sub_f16_e32 v40, v64, v40
	v_add_f16_e32 v65, v5, v65
	ds_write2_b32 v58, v0, v3 offset0:102 offset1:153
	v_mul_u32_u24_e32 v0, 0xcc, v23
	v_fma_f16 v1, v1, 2.0, -v62
	v_fma_f16 v64, v64, 2.0, -v40
	;; [unrolled: 1-line block ×3, first 2 shown]
	v_sub_f16_e32 v6, v68, v6
	v_add_u32_e32 v0, v0, v44
	v_fma_f16 v68, v68, 2.0, -v6
	v_fma_f16 v67, v67, 2.0, -v69
	v_add_lshl_u32 v59, v30, v0, 2
	v_pack_b32_f16 v0, v1, v64
	v_pack_b32_f16 v1, v66, v5
	v_sub_f16_e32 v67, v2, v67
	v_sub_f16_e32 v41, v68, v41
	v_add_f16_e32 v69, v6, v69
	ds_write2_b32 v59, v0, v1 offset1:51
	v_pack_b32_f16 v0, v62, v40
	v_pack_b32_f16 v1, v42, v65
	v_fma_f16 v2, v2, 2.0, -v67
	v_fma_f16 v68, v68, 2.0, -v41
	v_fma_f16 v6, v6, 2.0, -v69
	ds_write2_b32 v59, v0, v1 offset0:102 offset1:153
	v_mad_legacy_u16 v0, v45, s6, v60
	v_add_lshl_u32 v60, v30, v0, 2
	v_pack_b32_f16 v0, v2, v68
	v_pack_b32_f16 v1, v70, v6
	ds_write2_b32 v60, v0, v1 offset1:51
	v_pack_b32_f16 v0, v67, v41
	v_pack_b32_f16 v1, v43, v69
	v_mad_u64_u32 v[40:41], s[0:1], v20, 20, s[2:3]
	ds_write2_b32 v60, v0, v1 offset0:102 offset1:153
	s_waitcnt lgkmcnt(0)
	s_barrier
	global_load_dwordx4 v[0:3], v[40:41], off offset:748
	global_load_dword v61, v[40:41], off offset:764
	global_load_dwordx4 v[4:7], v[40:41], off offset:2788
	global_load_dword v62, v[40:41], off offset:2804
	ds_read2_b32 v[44:45], v15 offset1:102
	ds_read2_b32 v[40:41], v47 offset0:76 offset1:178
	ds_read2_b32 v[42:43], v46 offset0:152 offset1:254
	;; [unrolled: 1-line block ×5, first 2 shown]
	s_waitcnt lgkmcnt(4)
	v_lshrrev_b32_e32 v23, 16, v40
	s_waitcnt lgkmcnt(3)
	v_lshrrev_b32_e32 v30, 16, v42
	;; [unrolled: 2-line block ×5, first 2 shown]
	v_lshrrev_b32_e32 v68, 16, v41
	v_lshrrev_b32_e32 v69, 16, v43
	;; [unrolled: 1-line block ×7, first 2 shown]
	s_waitcnt vmcnt(3)
	v_mul_f16_sdwa v74, v23, v0 dst_sel:DWORD dst_unused:UNUSED_PAD src0_sel:DWORD src1_sel:WORD_1
	v_fma_f16 v74, v40, v0, -v74
	v_mul_f16_sdwa v40, v40, v0 dst_sel:DWORD dst_unused:UNUSED_PAD src0_sel:DWORD src1_sel:WORD_1
	v_fma_f16 v23, v23, v0, v40
	v_mul_f16_sdwa v40, v30, v1 dst_sel:DWORD dst_unused:UNUSED_PAD src0_sel:DWORD src1_sel:WORD_1
	v_fma_f16 v40, v42, v1, -v40
	v_mul_f16_sdwa v42, v42, v1 dst_sel:DWORD dst_unused:UNUSED_PAD src0_sel:DWORD src1_sel:WORD_1
	v_fma_f16 v30, v30, v1, v42
	;; [unrolled: 4-line block ×4, first 2 shown]
	s_waitcnt vmcnt(2)
	v_mul_f16_sdwa v66, v67, v61 dst_sel:DWORD dst_unused:UNUSED_PAD src0_sel:DWORD src1_sel:WORD_1
	v_fma_f16 v66, v64, v61, -v66
	v_mul_f16_sdwa v64, v64, v61 dst_sel:DWORD dst_unused:UNUSED_PAD src0_sel:DWORD src1_sel:WORD_1
	v_fma_f16 v64, v67, v61, v64
	s_waitcnt vmcnt(1)
	v_mul_f16_sdwa v67, v68, v4 dst_sel:DWORD dst_unused:UNUSED_PAD src0_sel:DWORD src1_sel:WORD_1
	v_fma_f16 v75, v41, v4, -v67
	v_mul_f16_sdwa v41, v41, v4 dst_sel:DWORD dst_unused:UNUSED_PAD src0_sel:DWORD src1_sel:WORD_1
	v_fma_f16 v76, v68, v4, v41
	v_mul_f16_sdwa v41, v69, v5 dst_sel:DWORD dst_unused:UNUSED_PAD src0_sel:DWORD src1_sel:WORD_1
	v_fma_f16 v77, v43, v5, -v41
	v_mul_f16_sdwa v41, v43, v5 dst_sel:DWORD dst_unused:UNUSED_PAD src0_sel:DWORD src1_sel:WORD_1
	v_fma_f16 v78, v69, v5, v41
	;; [unrolled: 4-line block ×4, first 2 shown]
	s_waitcnt vmcnt(0)
	v_mul_f16_sdwa v41, v73, v62 dst_sel:DWORD dst_unused:UNUSED_PAD src0_sel:DWORD src1_sel:WORD_1
	v_fma_f16 v72, v65, v62, -v41
	v_mul_f16_sdwa v41, v65, v62 dst_sel:DWORD dst_unused:UNUSED_PAD src0_sel:DWORD src1_sel:WORD_1
	v_fma_f16 v73, v73, v62, v41
	v_add_f16_e32 v41, v44, v40
	v_add_f16_e32 v43, v41, v63
	;; [unrolled: 1-line block ×3, first 2 shown]
	v_fma_f16 v41, v41, -0.5, v44
	v_sub_f16_e32 v44, v30, v48
	v_fma_f16 v68, v44, s5, v41
	v_fma_f16 v44, v44, s4, v41
	v_add_f16_e32 v41, v11, v30
	v_add_f16_e32 v30, v30, v48
	v_fma_f16 v11, v30, -0.5, v11
	v_sub_f16_e32 v30, v40, v63
	v_add_f16_e32 v40, v42, v66
	v_add_f16_e32 v69, v41, v48
	v_fma_f16 v40, v40, -0.5, v74
	v_sub_f16_e32 v41, v46, v64
	v_fma_f16 v63, v41, s5, v40
	v_fma_f16 v67, v41, s4, v40
	v_add_f16_e32 v40, v23, v46
	v_add_f16_e32 v70, v40, v64
	;; [unrolled: 1-line block ×3, first 2 shown]
	v_fma_f16 v23, v40, -0.5, v23
	v_sub_f16_e32 v40, v42, v66
	v_fma_f16 v48, v30, s4, v11
	v_fma_f16 v11, v30, s5, v11
	v_add_f16_e32 v30, v74, v42
	v_fma_f16 v42, v40, s4, v23
	v_fma_f16 v23, v40, s5, v23
	v_mul_f16_e32 v41, -0.5, v67
	v_mul_f16_e32 v40, 0x3aee, v42
	v_fma_f16 v74, v23, s5, v41
	v_mul_f16_e32 v23, -0.5, v23
	v_add_f16_e32 v30, v30, v66
	v_fma_f16 v46, v63, 0.5, v40
	v_mul_f16_e32 v63, 0xbaee, v63
	v_fma_f16 v23, v67, s4, v23
	v_add_f16_e32 v64, v43, v30
	v_add_f16_e32 v40, v68, v46
	;; [unrolled: 1-line block ×3, first 2 shown]
	v_fma_f16 v63, v42, 0.5, v63
	v_add_f16_e32 v67, v11, v23
	v_sub_f16_e32 v42, v43, v30
	v_sub_f16_e32 v43, v68, v46
	;; [unrolled: 1-line block ×4, first 2 shown]
	v_add_f16_e32 v23, v77, v80
	v_fma_f16 v23, v23, -0.5, v45
	v_sub_f16_e32 v30, v78, v49
	v_add_f16_e32 v66, v48, v63
	v_sub_f16_e32 v69, v48, v63
	v_fma_f16 v63, v30, s5, v23
	v_fma_f16 v23, v30, s4, v23
	v_add_f16_e32 v30, v71, v78
	v_add_f16_e32 v41, v44, v74
	v_sub_f16_e32 v44, v44, v74
	v_add_f16_e32 v74, v30, v49
	v_add_f16_e32 v30, v78, v49
	;; [unrolled: 1-line block ×3, first 2 shown]
	v_fma_f16 v30, v30, -0.5, v71
	v_sub_f16_e32 v45, v77, v80
	v_fma_f16 v77, v45, s4, v30
	v_fma_f16 v78, v45, s5, v30
	v_add_f16_e32 v45, v79, v72
	v_fma_f16 v45, v45, -0.5, v75
	v_sub_f16_e32 v46, v47, v73
	v_fma_f16 v48, v46, s5, v45
	v_fma_f16 v49, v46, s4, v45
	v_add_f16_e32 v45, v76, v47
	v_add_f16_e32 v30, v75, v79
	;; [unrolled: 1-line block ×4, first 2 shown]
	v_fma_f16 v45, v45, -0.5, v76
	v_sub_f16_e32 v46, v79, v72
	v_add_f16_e32 v30, v30, v72
	v_fma_f16 v72, v46, s4, v45
	v_fma_f16 v73, v46, s5, v45
	v_mul_f16_e32 v46, 0x3aee, v72
	v_fma_f16 v76, v48, 0.5, v46
	v_mul_f16_e32 v48, 0xbaee, v48
	v_add_f16_e32 v11, v11, v80
	v_mul_f16_e32 v47, -0.5, v49
	v_fma_f16 v80, v72, 0.5, v48
	v_mul_f16_e32 v48, -0.5, v73
	v_add_f16_e32 v45, v11, v30
	v_add_f16_e32 v46, v63, v76
	v_fma_f16 v79, v73, s5, v47
	v_add_f16_e32 v71, v74, v75
	v_fma_f16 v81, v49, s4, v48
	v_sub_f16_e32 v48, v11, v30
	v_sub_f16_e32 v49, v63, v76
	v_lshl_add_u32 v63, v20, 2, v25
	v_pack_b32_f16 v11, v64, v65
	v_add_f16_e32 v47, v23, v79
	v_add_f16_e32 v72, v77, v80
	;; [unrolled: 1-line block ×3, first 2 shown]
	v_sub_f16_e32 v30, v23, v79
	v_sub_f16_e32 v76, v78, v81
	ds_write_b32 v63, v11
	v_lshl_add_u32 v11, v20, 2, v25
	v_pack_b32_f16 v23, v40, v66
	v_pack_b32_f16 v78, v45, v71
	v_sub_f16_e32 v74, v74, v75
	v_sub_f16_e32 v75, v77, v80
	v_pack_b32_f16 v77, v41, v67
	ds_write2_b32 v11, v78, v23 offset0:102 offset1:204
	v_pack_b32_f16 v23, v46, v72
	v_add_u32_e32 v78, 0x400, v11
	v_pack_b32_f16 v80, v42, v68
	ds_write2_b32 v78, v23, v77 offset0:50 offset1:152
	v_pack_b32_f16 v23, v47, v73
	v_add_u32_e32 v79, 0x600, v11
	;; [unrolled: 4-line block ×4, first 2 shown]
	ds_write2_b32 v77, v23, v82 offset0:150 offset1:252
	v_pack_b32_f16 v23, v30, v76
	ds_write_b32 v11, v23 offset:4488
	s_waitcnt lgkmcnt(0)
	s_barrier
	s_and_saveexec_b64 s[2:3], vcc
	s_cbranch_execz .LBB0_9
; %bb.8:
	s_add_u32 s4, s12, 0x1320
	s_addc_u32 s5, s13, 0
	global_load_dword v82, v22, s[4:5]
	global_load_dword v90, v22, s[4:5] offset:288
	global_load_dword v91, v22, s[4:5] offset:576
	;; [unrolled: 1-line block ×9, first 2 shown]
	v_mov_b32_e32 v23, v19
	ds_read_b32 v83, v63
	v_lshl_add_u64 v[80:81], s[4:5], 0, v[22:23]
	global_load_dword v23, v22, s[4:5] offset:2880
	global_load_dword v100, v22, s[4:5] offset:3168
	;; [unrolled: 1-line block ×5, first 2 shown]
	s_movk_i32 s0, 0x1000
	v_add_co_u32_e64 v80, s[0:1], s0, v80
	v_or_b32_e32 v84, 0x1200, v22
	s_nop 0
	v_addc_co_u32_e64 v81, s[0:1], 0, v81, s[0:1]
	global_load_dword v104, v[80:81], off offset:224
	global_load_dword v105, v84, s[4:5]
	s_waitcnt lgkmcnt(0)
	v_lshrrev_b32_e32 v80, 16, v83
	v_add_u32_e32 v19, 0x200, v11
	v_add_u32_e32 v99, 0x800, v11
	s_waitcnt vmcnt(16)
	v_mul_f16_sdwa v81, v80, v82 dst_sel:DWORD dst_unused:UNUSED_PAD src0_sel:DWORD src1_sel:WORD_1
	v_mul_f16_sdwa v84, v83, v82 dst_sel:DWORD dst_unused:UNUSED_PAD src0_sel:DWORD src1_sel:WORD_1
	v_fma_f16 v81, v83, v82, -v81
	v_fma_f16 v80, v80, v82, v84
	v_pack_b32_f16 v80, v81, v80
	ds_write_b32 v63, v80
	ds_read2_b32 v[80:81], v11 offset0:72 offset1:144
	ds_read2_b32 v[82:83], v19 offset0:88 offset1:160
	;; [unrolled: 1-line block ×5, first 2 shown]
	s_waitcnt lgkmcnt(4)
	v_lshrrev_b32_e32 v106, 16, v80
	s_waitcnt vmcnt(15)
	v_mul_f16_sdwa v107, v80, v90 dst_sel:DWORD dst_unused:UNUSED_PAD src0_sel:DWORD src1_sel:WORD_1
	v_lshrrev_b32_e32 v108, 16, v81
	s_waitcnt vmcnt(14)
	v_mul_f16_sdwa v109, v81, v91 dst_sel:DWORD dst_unused:UNUSED_PAD src0_sel:DWORD src1_sel:WORD_1
	s_waitcnt lgkmcnt(3)
	v_lshrrev_b32_e32 v110, 16, v82
	s_waitcnt vmcnt(13)
	v_mul_f16_sdwa v111, v82, v92 dst_sel:DWORD dst_unused:UNUSED_PAD src0_sel:DWORD src1_sel:WORD_1
	v_lshrrev_b32_e32 v112, 16, v83
	s_waitcnt vmcnt(12)
	v_mul_f16_sdwa v113, v83, v93 dst_sel:DWORD dst_unused:UNUSED_PAD src0_sel:DWORD src1_sel:WORD_1
	;; [unrolled: 7-line block ×3, first 2 shown]
	s_waitcnt lgkmcnt(1)
	v_lshrrev_b32_e32 v118, 16, v86
	s_waitcnt vmcnt(9)
	v_mul_f16_sdwa v119, v86, v96 dst_sel:DWORD dst_unused:UNUSED_PAD src0_sel:DWORD src1_sel:WORD_1
	v_lshrrev_b32_e32 v120, 16, v87
	v_mul_f16_sdwa v123, v106, v90 dst_sel:DWORD dst_unused:UNUSED_PAD src0_sel:DWORD src1_sel:WORD_1
	v_fma_f16 v106, v106, v90, v107
	v_mul_f16_sdwa v107, v108, v91 dst_sel:DWORD dst_unused:UNUSED_PAD src0_sel:DWORD src1_sel:WORD_1
	s_waitcnt vmcnt(8)
	v_mul_f16_sdwa v121, v87, v97 dst_sel:DWORD dst_unused:UNUSED_PAD src0_sel:DWORD src1_sel:WORD_1
	v_fma_f16 v108, v108, v91, v109
	v_mul_f16_sdwa v109, v110, v92 dst_sel:DWORD dst_unused:UNUSED_PAD src0_sel:DWORD src1_sel:WORD_1
	v_fma_f16 v110, v110, v92, v111
	;; [unrolled: 2-line block ×6, first 2 shown]
	v_mul_f16_sdwa v119, v120, v97 dst_sel:DWORD dst_unused:UNUSED_PAD src0_sel:DWORD src1_sel:WORD_1
	v_fma_f16 v80, v80, v90, -v123
	v_fma_f16 v81, v81, v91, -v107
	s_waitcnt lgkmcnt(0)
	v_lshrrev_b32_e32 v122, 16, v88
	v_fma_f16 v120, v120, v97, v121
	v_fma_f16 v82, v82, v92, -v109
	v_fma_f16 v83, v83, v93, -v111
	;; [unrolled: 1-line block ×6, first 2 shown]
	v_pack_b32_f16 v80, v80, v106
	v_pack_b32_f16 v81, v81, v108
	s_waitcnt vmcnt(7)
	v_mul_f16_sdwa v121, v122, v98 dst_sel:DWORD dst_unused:UNUSED_PAD src0_sel:DWORD src1_sel:WORD_1
	v_pack_b32_f16 v82, v82, v110
	v_pack_b32_f16 v83, v83, v112
	;; [unrolled: 1-line block ×6, first 2 shown]
	ds_write2_b32 v11, v80, v81 offset0:72 offset1:144
	ds_write2_b32 v19, v82, v83 offset0:88 offset1:160
	;; [unrolled: 1-line block ×4, first 2 shown]
	v_mul_f16_sdwa v78, v88, v98 dst_sel:DWORD dst_unused:UNUSED_PAD src0_sel:DWORD src1_sel:WORD_1
	v_fma_f16 v19, v88, v98, -v121
	v_fma_f16 v78, v122, v98, v78
	v_lshrrev_b32_e32 v80, 16, v89
	v_pack_b32_f16 v19, v19, v78
	s_waitcnt vmcnt(6)
	v_mul_f16_sdwa v78, v80, v23 dst_sel:DWORD dst_unused:UNUSED_PAD src0_sel:DWORD src1_sel:WORD_1
	v_fma_f16 v81, v89, v23, -v78
	ds_read2_b32 v[78:79], v77 offset0:24 offset1:96
	v_mul_f16_sdwa v82, v89, v23 dst_sel:DWORD dst_unused:UNUSED_PAD src0_sel:DWORD src1_sel:WORD_1
	v_fma_f16 v23, v80, v23, v82
	v_pack_b32_f16 v23, v81, v23
	ds_write2_b32 v99, v19, v23 offset0:136 offset1:208
	s_waitcnt lgkmcnt(1)
	v_lshrrev_b32_e32 v19, 16, v78
	s_waitcnt vmcnt(5)
	v_mul_f16_sdwa v23, v19, v100 dst_sel:DWORD dst_unused:UNUSED_PAD src0_sel:DWORD src1_sel:WORD_1
	v_fma_f16 v23, v78, v100, -v23
	v_mul_f16_sdwa v78, v78, v100 dst_sel:DWORD dst_unused:UNUSED_PAD src0_sel:DWORD src1_sel:WORD_1
	v_fma_f16 v19, v19, v100, v78
	v_pack_b32_f16 v19, v23, v19
	v_lshrrev_b32_e32 v23, 16, v79
	ds_read2_b32 v[80:81], v77 offset0:168 offset1:240
	s_waitcnt vmcnt(4)
	v_mul_f16_sdwa v78, v23, v101 dst_sel:DWORD dst_unused:UNUSED_PAD src0_sel:DWORD src1_sel:WORD_1
	v_fma_f16 v78, v79, v101, -v78
	v_mul_f16_sdwa v79, v79, v101 dst_sel:DWORD dst_unused:UNUSED_PAD src0_sel:DWORD src1_sel:WORD_1
	v_fma_f16 v23, v23, v101, v79
	v_pack_b32_f16 v23, v78, v23
	ds_write2_b32 v77, v19, v23 offset0:24 offset1:96
	s_waitcnt lgkmcnt(1)
	v_lshrrev_b32_e32 v19, 16, v80
	s_waitcnt vmcnt(3)
	v_mul_f16_sdwa v23, v19, v102 dst_sel:DWORD dst_unused:UNUSED_PAD src0_sel:DWORD src1_sel:WORD_1
	v_mul_f16_sdwa v78, v80, v102 dst_sel:DWORD dst_unused:UNUSED_PAD src0_sel:DWORD src1_sel:WORD_1
	v_fma_f16 v23, v80, v102, -v23
	v_fma_f16 v19, v19, v102, v78
	v_pack_b32_f16 v19, v23, v19
	v_lshrrev_b32_e32 v23, 16, v81
	s_waitcnt vmcnt(2)
	v_mul_f16_sdwa v78, v23, v103 dst_sel:DWORD dst_unused:UNUSED_PAD src0_sel:DWORD src1_sel:WORD_1
	v_add_u32_e32 v82, 0x1000, v11
	v_fma_f16 v80, v81, v103, -v78
	ds_read2_b32 v[78:79], v82 offset0:56 offset1:128
	v_mul_f16_sdwa v81, v81, v103 dst_sel:DWORD dst_unused:UNUSED_PAD src0_sel:DWORD src1_sel:WORD_1
	v_fma_f16 v23, v23, v103, v81
	v_pack_b32_f16 v23, v80, v23
	ds_write2_b32 v77, v19, v23 offset0:168 offset1:240
	s_waitcnt lgkmcnt(1)
	v_lshrrev_b32_e32 v19, 16, v78
	s_waitcnt vmcnt(1)
	v_mul_f16_sdwa v23, v19, v104 dst_sel:DWORD dst_unused:UNUSED_PAD src0_sel:DWORD src1_sel:WORD_1
	v_mul_f16_sdwa v77, v78, v104 dst_sel:DWORD dst_unused:UNUSED_PAD src0_sel:DWORD src1_sel:WORD_1
	v_fma_f16 v23, v78, v104, -v23
	v_fma_f16 v19, v19, v104, v77
	v_pack_b32_f16 v19, v23, v19
	v_lshrrev_b32_e32 v23, 16, v79
	s_waitcnt vmcnt(0)
	v_mul_f16_sdwa v77, v23, v105 dst_sel:DWORD dst_unused:UNUSED_PAD src0_sel:DWORD src1_sel:WORD_1
	v_mul_f16_sdwa v78, v79, v105 dst_sel:DWORD dst_unused:UNUSED_PAD src0_sel:DWORD src1_sel:WORD_1
	v_fma_f16 v77, v79, v105, -v77
	v_fma_f16 v23, v23, v105, v78
	v_pack_b32_f16 v23, v77, v23
	ds_write2_b32 v82, v19, v23 offset0:56 offset1:128
.LBB0_9:
	s_or_b64 exec, exec, s[2:3]
	s_waitcnt lgkmcnt(0)
	s_barrier
	s_and_saveexec_b64 s[0:1], vcc
	s_cbranch_execz .LBB0_11
; %bb.10:
	v_add_u32_e32 v19, 0x200, v63
	ds_read_b32 v64, v63
	ds_read2_b32 v[40:41], v63 offset0:72 offset1:144
	ds_read2_b32 v[42:43], v19 offset0:88 offset1:160
	v_add_u32_e32 v19, 0x400, v63
	ds_read2_b32 v[44:45], v19 offset0:104 offset1:176
	v_add_u32_e32 v19, 0x600, v63
	ds_read2_b32 v[46:47], v19 offset0:120 offset1:192
	v_add_u32_e32 v19, 0x800, v63
	ds_read2_b32 v[48:49], v19 offset0:136 offset1:208
	v_add_u32_e32 v19, 0xc00, v63
	ds_read2_b32 v[30:31], v19 offset0:24 offset1:96
	ds_read2_b32 v[28:29], v19 offset0:168 offset1:240
	v_add_u32_e32 v19, 0x1000, v63
	ds_read2_b32 v[26:27], v19 offset0:56 offset1:128
	s_waitcnt lgkmcnt(8)
	v_lshrrev_b32_e32 v65, 16, v64
	s_waitcnt lgkmcnt(7)
	v_lshrrev_b32_e32 v66, 16, v40
	v_lshrrev_b32_e32 v67, 16, v41
	s_waitcnt lgkmcnt(6)
	v_lshrrev_b32_e32 v68, 16, v42
	;; [unrolled: 3-line block ×8, first 2 shown]
	v_lshrrev_b32_e32 v50, 16, v27
.LBB0_11:
	s_or_b64 exec, exec, s[0:1]
	v_add_u32_e32 v19, 0x198, v11
	s_barrier
	s_and_saveexec_b64 s[0:1], vcc
	s_cbranch_execz .LBB0_13
; %bb.12:
	v_sub_f16_e32 v23, v40, v27
	v_mul_f16_e32 v100, 0xba62, v23
	v_add_f16_e32 v101, v50, v66
	s_mov_b32 s2, 0xb8d2
	v_fma_f16 v77, v101, s2, v100
	v_add_f16_e32 v78, v65, v77
	v_sub_f16_e32 v77, v41, v26
	v_mul_f16_e32 v102, 0x3bb2, v77
	v_add_f16_e32 v103, v51, v67
	s_mov_b32 s3, 0xb461
	v_fma_f16 v79, v103, s3, v102
	v_add_f16_e32 v78, v79, v78
	v_sub_f16_e32 v79, v42, v29
	v_mul_f16_e32 v104, 0xb5c8, v79
	v_add_f16_e32 v105, v52, v68
	s_movk_i32 s6, 0x3b76
	v_fma_f16 v80, v105, s6, v104
	v_add_f16_e32 v78, v80, v78
	v_sub_f16_e32 v80, v43, v28
	v_mul_f16_e32 v106, 0xb836, v80
	v_add_f16_e32 v107, v53, v69
	s_mov_b32 s5, 0xbacd
	v_fma_f16 v81, v107, s5, v106
	v_add_f16_e32 v78, v81, v78
	v_sub_f16_e32 v81, v44, v31
	v_mul_f16_e32 v108, 0x3bf7, v81
	v_add_f16_e32 v109, v54, v70
	s_movk_i32 s16, 0x2de8
	v_fma_f16 v82, v109, s16, v108
	v_add_f16_e32 v78, v82, v78
	v_sub_f16_e32 v82, v45, v30
	v_mul_f16_e32 v110, 0xb964, v82
	v_add_f16_e32 v111, v76, v71
	s_movk_i32 s19, 0x39e9
	v_fma_f16 v83, v111, s19, v110
	v_add_f16_e32 v78, v83, v78
	v_sub_f16_e32 v83, v46, v49
	v_mul_f16_e32 v112, 0xb1e1, v83
	v_add_f16_e32 v113, v75, v72
	s_mov_b32 s18, 0xbbdd
	v_fma_f16 v84, v113, s18, v112
	v_add_f16_e32 v78, v84, v78
	v_sub_f16_e32 v84, v47, v48
	v_mul_f16_e32 v114, 0x3b29, v84
	v_add_f16_e32 v115, v74, v73
	s_movk_i32 s22, 0x3722
	v_fma_f16 v85, v115, s22, v114
	v_sub_f16_e32 v116, v66, v50
	v_add_f16_e32 v78, v85, v78
	v_add_f16_e32 v85, v27, v40
	v_mul_f16_e32 v117, 0xba62, v116
	v_fma_f16 v100, v101, s2, -v100
	v_fma_f16 v86, v85, s2, -v117
	v_sub_f16_e32 v118, v67, v51
	v_add_f16_e32 v100, v65, v100
	v_fma_f16 v102, v103, s3, -v102
	v_add_f16_e32 v87, v64, v86
	v_add_f16_e32 v86, v26, v41
	v_mul_f16_e32 v119, 0x3bb2, v118
	v_add_f16_e32 v100, v102, v100
	v_fma_f16 v102, v105, s6, -v104
	v_fma_f16 v88, v86, s3, -v119
	v_sub_f16_e32 v120, v68, v52
	v_add_f16_e32 v100, v102, v100
	v_fma_f16 v102, v107, s5, -v106
	v_add_f16_e32 v88, v88, v87
	v_add_f16_e32 v87, v29, v42
	v_mul_f16_e32 v121, 0xb5c8, v120
	v_add_f16_e32 v100, v102, v100
	;; [unrolled: 9-line block ×4, first 2 shown]
	v_fma_f16 v102, v85, s2, v117
	v_fma_f16 v91, v90, s16, -v125
	v_sub_f16_e32 v126, v71, v76
	v_add_f16_e32 v102, v64, v102
	v_fma_f16 v104, v86, s3, v119
	v_add_f16_e32 v88, v91, v88
	v_add_f16_e32 v91, v30, v45
	v_mul_f16_e32 v127, 0xb964, v126
	v_add_f16_e32 v102, v104, v102
	v_fma_f16 v104, v87, s6, v121
	v_fma_f16 v92, v91, s19, -v127
	v_sub_f16_e32 v128, v72, v75
	v_add_f16_e32 v102, v104, v102
	v_fma_f16 v104, v89, s5, v123
	v_add_f16_e32 v88, v92, v88
	v_add_f16_e32 v92, v49, v46
	v_mul_f16_e32 v129, 0xb1e1, v128
	v_add_f16_e32 v102, v104, v102
	;; [unrolled: 9-line block ×3, first 2 shown]
	v_fma_f16 v104, v92, s18, v129
	v_add_f16_e32 v102, v104, v102
	v_fma_f16 v104, v93, s22, v131
	s_movk_i32 s21, 0x3bb2
	v_add_f16_e32 v102, v104, v102
	v_mul_f16_e32 v104, 0xb461, v101
	s_mov_b32 s7, 0xb836
	v_fma_f16 v106, v23, s21, v104
	v_mul_f16_e32 v108, 0xbacd, v103
	v_add_f16_e32 v106, v65, v106
	v_fma_f16 v110, v77, s7, v108
	s_mov_b32 s23, 0xb964
	v_add_f16_e32 v106, v110, v106
	v_mul_f16_e32 v110, 0x39e9, v105
	v_fma_f16 v94, v93, s22, -v131
	v_mul_f16_e32 v132, 0xb836, v23
	v_fma_f16 v112, v79, s23, v110
	s_movk_i32 s24, 0x3b29
	v_add_f16_e32 v88, v94, v88
	v_fma_f16 v94, v101, s5, v132
	v_mul_f16_e32 v133, 0x3b29, v77
	v_fma_f16 v132, v101, s5, -v132
	v_add_f16_e32 v106, v112, v106
	v_mul_f16_e32 v112, 0x3722, v107
	v_fma_f16 v95, v103, s22, v133
	v_mul_f16_e32 v134, 0xbbf7, v79
	v_add_f16_e32 v132, v65, v132
	v_fma_f16 v133, v103, s22, -v133
	v_fma_f16 v114, v80, s24, v112
	v_mul_f16_e32 v135, 0x3a62, v80
	v_add_f16_e32 v132, v133, v132
	v_fma_f16 v133, v105, s16, -v134
	v_add_f16_e32 v106, v114, v106
	v_mul_f16_e32 v114, 0xbbdd, v109
	v_mul_f16_e32 v136, 0xb5c8, v81
	v_add_f16_e32 v132, v133, v132
	v_fma_f16 v133, v107, s2, -v135
	v_fma_f16 v117, v81, s34, v114
	v_add_f16_e32 v94, v65, v94
	s_mov_b32 s25, 0xbbf7
	v_mul_f16_e32 v137, 0xb1e1, v82
	v_add_f16_e32 v132, v133, v132
	v_fma_f16 v133, v109, s6, -v136
	v_add_f16_e32 v106, v117, v106
	v_mul_f16_e32 v117, 0x2de8, v111
	v_add_f16_e32 v94, v95, v94
	v_fma_f16 v95, v105, s16, v134
	v_mul_f16_e32 v138, 0x3964, v83
	v_add_f16_e32 v132, v133, v132
	v_fma_f16 v133, v111, s18, -v137
	v_fma_f16 v119, v82, s25, v117
	v_add_f16_e32 v94, v95, v94
	v_fma_f16 v95, v107, s2, v135
	v_mul_f16_e32 v139, 0xbbb2, v84
	s_movk_i32 s28, 0x35c8
	v_add_f16_e32 v132, v133, v132
	v_fma_f16 v133, v113, s19, -v138
	v_add_f16_e32 v106, v119, v106
	v_mul_f16_e32 v119, 0x3b76, v113
	v_add_f16_e32 v94, v95, v94
	v_fma_f16 v95, v109, s6, v136
	v_mul_f16_e32 v140, 0xb836, v116
	v_add_f16_e32 v132, v133, v132
	v_fma_f16 v133, v115, s3, -v139
	v_fma_f16 v121, v83, s28, v119
	s_movk_i32 s30, 0x3a62
	v_add_f16_e32 v94, v95, v94
	v_fma_f16 v95, v111, s18, v137
	v_mul_f16_e32 v141, 0x3b29, v118
	v_add_f16_e32 v132, v133, v132
	v_fma_f16 v133, v85, s5, v140
	v_add_f16_e32 v106, v121, v106
	v_mul_f16_e32 v121, 0xb8d2, v115
	v_add_f16_e32 v94, v95, v94
	v_fma_f16 v95, v113, s19, v138
	v_mul_f16_e32 v142, 0xbbf7, v120
	v_add_f16_e32 v133, v64, v133
	v_fma_f16 v134, v86, s22, v141
	v_fma_f16 v123, v84, s30, v121
	v_add_f16_e32 v94, v95, v94
	v_fma_f16 v95, v115, s3, v139
	v_mul_f16_e32 v143, 0x3a62, v122
	v_add_f16_e32 v133, v134, v133
	v_fma_f16 v134, v87, s16, v142
	v_add_f16_e32 v106, v123, v106
	v_mul_f16_e32 v123, 0xbbb2, v116
	v_add_f16_e32 v94, v95, v94
	v_fma_f16 v95, v85, s5, -v140
	v_mul_f16_e32 v144, 0xb5c8, v124
	v_add_f16_e32 v133, v134, v133
	v_fma_f16 v134, v89, s2, v143
	v_fma_f16 v125, v85, s3, v123
	v_mul_f16_e32 v127, 0x3836, v118
	v_add_f16_e32 v95, v64, v95
	v_fma_f16 v96, v86, s22, -v141
	v_mul_f16_e32 v145, 0xb1e1, v126
	v_add_f16_e32 v133, v134, v133
	v_fma_f16 v134, v90, s6, v144
	v_add_f16_e32 v125, v64, v125
	v_fma_f16 v129, v86, s5, v127
	v_add_f16_e32 v95, v96, v95
	v_fma_f16 v96, v87, s16, -v142
	v_mul_f16_e32 v146, 0x3964, v128
	v_add_f16_e32 v133, v134, v133
	v_fma_f16 v134, v91, s18, v145
	v_add_f16_e32 v125, v129, v125
	v_mul_f16_e32 v129, 0x3964, v120
	v_add_f16_e32 v95, v96, v95
	v_fma_f16 v96, v89, s2, -v143
	v_mul_f16_e32 v147, 0xbbb2, v130
	v_add_f16_e32 v133, v134, v133
	v_fma_f16 v134, v92, s19, v146
	v_fma_f16 v131, v87, s19, v129
	v_add_f16_e32 v95, v96, v95
	v_fma_f16 v96, v90, s6, -v144
	v_add_f16_e32 v133, v134, v133
	v_fma_f16 v134, v93, s3, v147
	v_add_f16_e32 v125, v131, v125
	v_mul_f16_e32 v131, 0xbb29, v122
	v_add_f16_e32 v95, v96, v95
	v_fma_f16 v96, v91, s18, -v145
	v_add_f16_e32 v133, v134, v133
	v_fma_f16 v134, v89, s22, v131
	v_add_f16_e32 v95, v96, v95
	v_fma_f16 v96, v92, s19, -v146
	v_add_f16_e32 v125, v134, v125
	v_mul_f16_e32 v134, 0xb1e1, v124
	v_add_f16_e32 v95, v96, v95
	v_fma_f16 v96, v93, s3, -v147
	v_mul_f16_e32 v98, 0xb1e1, v23
	v_fma_f16 v135, v90, s18, v134
	v_add_f16_e32 v95, v96, v95
	v_fma_f16 v96, v101, s18, v98
	v_mul_f16_e32 v99, 0x35c8, v77
	v_add_f16_e32 v125, v135, v125
	v_mul_f16_e32 v135, 0x3bf7, v126
	v_add_f16_e32 v96, v65, v96
	v_fma_f16 v97, v103, s6, v99
	v_mul_f16_e32 v148, 0xb836, v79
	v_fma_f16 v136, v91, s16, v135
	v_add_f16_e32 v96, v97, v96
	v_fma_f16 v97, v105, s5, v148
	v_mul_f16_e32 v149, 0x3964, v80
	v_add_f16_e32 v125, v136, v125
	v_mul_f16_e32 v136, 0xb5c8, v128
	v_add_f16_e32 v96, v97, v96
	v_fma_f16 v97, v107, s19, v149
	;; [unrolled: 9-line block ×3, first 2 shown]
	v_mul_f16_e32 v152, 0xbbb2, v83
	v_fma_f16 v138, v93, s2, v137
	s_movk_i32 s27, 0x3bf7
	v_add_f16_e32 v96, v97, v96
	v_fma_f16 v97, v113, s3, v152
	v_mul_f16_e32 v153, 0x3bf7, v84
	v_fma_f16 v98, v101, s18, -v98
	v_add_f16_e32 v125, v138, v125
	v_mul_f16_e32 v138, 0x2de8, v101
	v_add_f16_e32 v96, v97, v96
	v_fma_f16 v97, v115, s16, v153
	v_mul_f16_e32 v154, 0xb1e1, v116
	v_add_f16_e32 v98, v65, v98
	v_fma_f16 v99, v103, s6, -v99
	v_fma_f16 v139, v23, s27, v138
	v_mul_f16_e32 v140, 0xbbdd, v103
	v_add_f16_e32 v96, v97, v96
	v_fma_f16 v97, v85, s18, -v154
	v_mul_f16_e32 v155, 0x35c8, v118
	v_add_f16_e32 v98, v99, v98
	v_fma_f16 v99, v105, s5, -v148
	v_add_f16_e32 v139, v65, v139
	v_fma_f16 v141, v77, s34, v140
	v_add_f16_e32 v97, v64, v97
	v_fma_f16 v156, v86, s6, -v155
	v_add_f16_e32 v98, v99, v98
	v_fma_f16 v99, v107, s19, -v149
	v_add_f16_e32 v139, v141, v139
	v_mul_f16_e32 v141, 0xb461, v105
	v_add_f16_e32 v97, v156, v97
	v_mul_f16_e32 v156, 0xb836, v120
	v_add_f16_e32 v98, v99, v98
	v_fma_f16 v99, v109, s2, -v150
	v_fma_f16 v142, v79, s26, v141
	s_mov_b32 s17, 0xb5c8
	v_fma_f16 v157, v87, s5, -v156
	v_add_f16_e32 v98, v99, v98
	v_fma_f16 v99, v111, s22, -v151
	v_add_f16_e32 v139, v142, v139
	v_mul_f16_e32 v142, 0x3b76, v107
	v_add_f16_e32 v97, v157, v97
	v_mul_f16_e32 v157, 0x3964, v122
	v_add_f16_e32 v98, v99, v98
	v_fma_f16 v99, v113, s3, -v152
	v_fma_f16 v143, v80, s17, v142
	v_fma_f16 v158, v89, s19, -v157
	v_add_f16_e32 v98, v99, v98
	v_fma_f16 v99, v115, s16, -v153
	v_add_f16_e32 v139, v143, v139
	v_mul_f16_e32 v143, 0x3722, v109
	v_add_f16_e32 v97, v158, v97
	v_mul_f16_e32 v158, 0xba62, v124
	v_add_f16_e32 v98, v99, v98
	v_fma_f16 v99, v85, s18, v154
	v_fma_f16 v144, v81, s24, v143
	v_fma_f16 v159, v90, s2, -v158
	v_add_f16_e32 v99, v64, v99
	v_fma_f16 v148, v86, s6, v155
	v_add_f16_e32 v139, v144, v139
	v_mul_f16_e32 v144, 0xbacd, v111
	v_add_f16_e32 v97, v159, v97
	v_mul_f16_e32 v159, 0x3b29, v126
	v_add_f16_e32 v99, v148, v99
	v_fma_f16 v148, v87, s5, v156
	v_fma_f16 v145, v82, s33, v144
	s_mov_b32 s4, 0xba62
	v_fma_f16 v160, v91, s22, -v159
	v_add_f16_e32 v99, v148, v99
	v_fma_f16 v148, v89, s19, v157
	v_add_f16_e32 v139, v145, v139
	v_mul_f16_e32 v145, 0xb8d2, v113
	v_add_f16_e32 v97, v160, v97
	v_mul_f16_e32 v160, 0xbbb2, v128
	v_add_f16_e32 v99, v148, v99
	v_fma_f16 v148, v90, s2, v158
	v_fma_f16 v146, v83, s4, v145
	v_fma_f16 v161, v92, s3, -v160
	v_add_f16_e32 v99, v148, v99
	v_fma_f16 v148, v91, s22, v159
	v_add_f16_e32 v139, v146, v139
	v_mul_f16_e32 v146, 0x39e9, v115
	v_add_f16_e32 v40, v40, v64
	v_add_f16_e32 v97, v161, v97
	v_mul_f16_e32 v161, 0x3bf7, v130
	v_add_f16_e32 v99, v148, v99
	v_fma_f16 v148, v92, s3, v160
	v_fma_f16 v147, v84, s23, v146
	v_add_f16_e32 v40, v41, v40
	v_add_f16_e32 v99, v148, v99
	v_fma_f16 v148, v93, s16, v161
	v_add_f16_e32 v139, v147, v139
	v_mul_f16_e32 v147, 0xbbf7, v116
	v_add_f16_e32 v40, v42, v40
	v_add_f16_e32 v99, v148, v99
	v_fma_f16 v148, v85, s16, v147
	v_mul_f16_e32 v149, 0xb1e1, v118
	v_add_f16_e32 v40, v43, v40
	v_add_f16_e32 v148, v64, v148
	v_fma_f16 v150, v86, s18, v149
	v_add_f16_e32 v40, v44, v40
	v_add_f16_e32 v148, v150, v148
	v_mul_f16_e32 v150, 0x3bb2, v120
	v_add_f16_e32 v40, v45, v40
	v_fma_f16 v151, v87, s3, v150
	v_add_f16_e32 v40, v46, v40
	v_add_f16_e32 v148, v151, v148
	v_mul_f16_e32 v151, 0x35c8, v122
	;; [unrolled: 5-line block ×5, first 2 shown]
	v_add_f16_e32 v28, v29, v28
	v_fma_f16 v155, v92, s2, v154
	v_add_f16_e32 v26, v26, v28
	v_fma_f16 v28, v23, s26, v104
	s_movk_i32 s29, 0x3964
	v_add_f16_e32 v148, v155, v148
	v_mul_f16_e32 v155, 0x3964, v130
	v_add_f16_e32 v28, v65, v28
	v_fma_f16 v29, v77, s33, v108
	v_fma_f16 v156, v93, s19, v155
	v_add_f16_e32 v28, v29, v28
	v_fma_f16 v29, v79, s29, v110
	s_mov_b32 s20, 0xb1e1
	v_add_f16_e32 v148, v156, v148
	v_mul_f16_e32 v156, 0x3722, v101
	v_add_f16_e32 v28, v29, v28
	v_fma_f16 v29, v80, s31, v112
	v_fma_f16 v157, v23, s24, v156
	v_mul_f16_e32 v158, 0xb8d2, v103
	v_add_f16_e32 v28, v29, v28
	v_fma_f16 v29, v81, s20, v114
	v_add_f16_e32 v157, v65, v157
	v_fma_f16 v159, v77, s30, v158
	;; [unrolled: 2-line block ×3, first 2 shown]
	v_add_f16_e32 v157, v159, v157
	v_mul_f16_e32 v159, 0xbbdd, v105
	v_add_f16_e32 v28, v29, v28
	v_fma_f16 v29, v83, s17, v119
	v_fma_f16 v160, v79, s20, v159
	v_add_f16_e32 v28, v29, v28
	v_fma_f16 v29, v84, s4, v121
	v_add_f16_e32 v157, v160, v157
	v_mul_f16_e32 v160, 0xb461, v107
	v_add_f16_e32 v28, v29, v28
	v_fma_f16 v29, v85, s3, -v123
	v_fma_f16 v162, v93, s16, -v161
	v_fma_f16 v161, v80, s26, v160
	v_add_f16_e32 v29, v64, v29
	v_fma_f16 v30, v86, s5, -v127
	v_add_f16_e32 v157, v161, v157
	v_mul_f16_e32 v161, 0x39e9, v109
	v_add_f16_e32 v29, v30, v29
	v_fma_f16 v30, v87, s19, -v129
	v_add_f16_e32 v97, v162, v97
	v_fma_f16 v162, v81, s23, v161
	v_add_f16_e32 v29, v30, v29
	v_fma_f16 v30, v89, s22, -v131
	v_add_f16_e32 v157, v162, v157
	v_mul_f16_e32 v162, 0x3b76, v111
	v_add_f16_e32 v29, v30, v29
	v_fma_f16 v30, v90, s18, -v134
	v_fma_f16 v163, v82, s28, v162
	v_add_f16_e32 v29, v30, v29
	v_fma_f16 v30, v91, s16, -v135
	v_add_f16_e32 v157, v163, v157
	v_mul_f16_e32 v163, 0x2de8, v113
	v_add_f16_e32 v29, v30, v29
	v_fma_f16 v30, v92, s6, -v136
	v_fma_f16 v164, v83, s27, v163
	v_add_f16_e32 v29, v30, v29
	v_fma_f16 v30, v93, s2, -v137
	v_add_f16_e32 v157, v164, v157
	v_mul_f16_e32 v164, 0xbacd, v115
	v_add_f16_e32 v29, v30, v29
	v_fma_f16 v30, v23, s25, v138
	v_fma_f16 v165, v84, s33, v164
	v_add_f16_e32 v30, v65, v30
	v_fma_f16 v31, v77, s20, v140
	v_add_f16_e32 v157, v165, v157
	v_mul_f16_e32 v165, 0xbb29, v116
	v_add_f16_e32 v30, v31, v30
	v_fma_f16 v31, v79, s21, v141
	v_fma_f16 v166, v85, s22, v165
	v_mul_f16_e32 v167, 0xba62, v118
	v_add_f16_e32 v30, v31, v30
	v_fma_f16 v31, v80, s28, v142
	v_add_f16_e32 v166, v64, v166
	v_fma_f16 v168, v86, s2, v167
	;; [unrolled: 2-line block ×3, first 2 shown]
	v_add_f16_e32 v166, v168, v166
	v_mul_f16_e32 v168, 0x31e1, v120
	v_add_f16_e32 v30, v31, v30
	v_fma_f16 v31, v82, s7, v144
	v_fma_f16 v169, v87, s18, v168
	v_add_f16_e32 v30, v31, v30
	v_fma_f16 v31, v83, s30, v145
	v_add_f16_e32 v166, v169, v166
	v_mul_f16_e32 v169, 0x3bb2, v122
	v_add_f16_e32 v30, v31, v30
	v_fma_f16 v31, v84, s29, v146
	v_fma_f16 v170, v89, s3, v169
	v_add_f16_e32 v30, v31, v30
	v_fma_f16 v31, v85, s16, -v147
	v_add_f16_e32 v166, v170, v166
	v_mul_f16_e32 v170, 0x3964, v124
	v_add_f16_e32 v31, v64, v31
	v_fma_f16 v40, v86, s18, -v149
	v_fma_f16 v171, v90, s19, v170
	v_add_f16_e32 v31, v40, v31
	v_fma_f16 v40, v87, s3, -v150
	v_add_f16_e32 v166, v171, v166
	v_mul_f16_e32 v171, 0xb5c8, v126
	v_add_f16_e32 v31, v40, v31
	v_fma_f16 v40, v89, s6, -v151
	;; [unrolled: 7-line block ×4, first 2 shown]
	v_fma_f16 v174, v93, s5, v173
	v_add_f16_e32 v31, v40, v31
	v_fma_f16 v40, v23, s31, v156
	v_add_f16_e32 v166, v174, v166
	v_mul_f16_e32 v174, 0x39e9, v101
	v_add_f16_e32 v40, v65, v40
	v_fma_f16 v41, v77, s4, v158
	v_fma_f16 v175, v23, s29, v174
	v_mul_f16_e32 v176, 0x2de8, v103
	v_add_f16_e32 v40, v41, v40
	v_fma_f16 v41, v79, s34, v159
	v_add_f16_e32 v175, v65, v175
	v_fma_f16 v177, v77, s27, v176
	;; [unrolled: 2-line block ×3, first 2 shown]
	v_add_f16_e32 v175, v177, v175
	v_mul_f16_e32 v177, 0xb8d2, v105
	v_add_f16_e32 v40, v41, v40
	v_fma_f16 v41, v81, s29, v161
	v_fma_f16 v178, v79, s30, v177
	v_add_f16_e32 v40, v41, v40
	v_fma_f16 v41, v82, s17, v162
	v_add_f16_e32 v175, v178, v175
	v_mul_f16_e32 v178, 0xbbdd, v107
	v_add_f16_e32 v40, v41, v40
	v_fma_f16 v41, v83, s25, v163
	v_fma_f16 v179, v80, s34, v178
	v_add_f16_e32 v40, v41, v40
	v_fma_f16 v41, v84, s7, v164
	v_add_f16_e32 v175, v179, v175
	v_mul_f16_e32 v179, 0xbacd, v109
	v_add_f16_e32 v40, v41, v40
	v_fma_f16 v41, v85, s22, -v165
	v_fma_f16 v180, v81, s7, v179
	v_add_f16_e32 v41, v64, v41
	v_fma_f16 v42, v86, s2, -v167
	v_add_f16_e32 v175, v180, v175
	v_mul_f16_e32 v180, 0xb461, v111
	v_add_f16_e32 v41, v42, v41
	v_fma_f16 v42, v87, s18, -v168
	v_fma_f16 v181, v82, s26, v180
	v_add_f16_e32 v41, v42, v41
	v_fma_f16 v42, v89, s3, -v169
	v_add_f16_e32 v175, v181, v175
	v_mul_f16_e32 v181, 0x3722, v113
	v_add_f16_e32 v41, v42, v41
	v_fma_f16 v42, v90, s19, -v170
	v_fma_f16 v182, v83, s31, v181
	v_add_f16_e32 v41, v42, v41
	v_fma_f16 v42, v91, s6, -v171
	v_add_f16_e32 v175, v182, v175
	v_mul_f16_e32 v182, 0x3b76, v115
	v_add_f16_e32 v41, v42, v41
	v_fma_f16 v42, v92, s16, -v172
	v_fma_f16 v183, v84, s17, v182
	v_add_f16_e32 v41, v42, v41
	v_fma_f16 v42, v93, s5, -v173
	v_add_f16_e32 v175, v183, v175
	v_mul_f16_e32 v183, 0xb964, v116
	v_add_f16_e32 v41, v42, v41
	v_fma_f16 v42, v23, s23, v174
	v_fma_f16 v184, v85, s19, v183
	v_mul_f16_e32 v185, 0xbbf7, v118
	v_add_f16_e32 v42, v65, v42
	v_fma_f16 v43, v77, s25, v176
	v_add_f16_e32 v184, v64, v184
	v_fma_f16 v186, v86, s16, v185
	;; [unrolled: 2-line block ×3, first 2 shown]
	v_add_f16_e32 v184, v186, v184
	v_mul_f16_e32 v186, 0xba62, v120
	v_add_f16_e32 v42, v43, v42
	v_fma_f16 v43, v80, s20, v178
	v_fma_f16 v187, v87, s2, v186
	v_add_f16_e32 v42, v43, v42
	v_fma_f16 v43, v81, s33, v179
	v_add_f16_e32 v184, v187, v184
	v_mul_f16_e32 v187, 0xb1e1, v122
	v_add_f16_e32 v42, v43, v42
	v_fma_f16 v43, v82, s21, v180
	v_fma_f16 v188, v89, s18, v187
	v_add_f16_e32 v42, v43, v42
	v_fma_f16 v43, v83, s24, v181
	v_add_f16_e32 v184, v188, v184
	v_mul_f16_e32 v188, 0x3836, v124
	v_add_f16_e32 v42, v43, v42
	v_fma_f16 v43, v84, s28, v182
	v_fma_f16 v189, v90, s5, v188
	v_add_f16_e32 v42, v43, v42
	v_fma_f16 v43, v85, s19, -v183
	v_add_f16_e32 v184, v189, v184
	v_mul_f16_e32 v189, 0x3bb2, v126
	v_add_f16_e32 v43, v64, v43
	v_fma_f16 v44, v86, s16, -v185
	v_fma_f16 v190, v91, s3, v189
	v_add_f16_e32 v43, v44, v43
	v_fma_f16 v44, v87, s2, -v186
	v_add_f16_e32 v184, v190, v184
	v_mul_f16_e32 v190, 0x3b29, v128
	v_add_f16_e32 v43, v44, v43
	v_fma_f16 v44, v89, s18, -v187
	;; [unrolled: 7-line block ×3, first 2 shown]
	v_fma_f16 v192, v93, s6, v191
	v_mul_f16_e32 v101, 0x3b76, v101
	v_add_f16_e32 v43, v44, v43
	v_fma_f16 v44, v92, s22, -v190
	v_add_f16_e32 v184, v192, v184
	v_fma_f16 v192, v23, s28, v101
	v_mul_f16_e32 v103, 0x39e9, v103
	v_add_f16_e32 v43, v44, v43
	v_fma_f16 v44, v93, s6, -v191
	v_fma_f16 v23, v23, s17, v101
	v_add_f16_e32 v192, v65, v192
	v_fma_f16 v193, v77, s29, v103
	v_mul_f16_e32 v105, 0x3722, v105
	v_add_f16_e32 v26, v27, v26
	v_add_f16_e32 v27, v66, v65
	;; [unrolled: 1-line block ×4, first 2 shown]
	v_fma_f16 v44, v77, s23, v103
	v_add_f16_e32 v192, v193, v192
	v_fma_f16 v193, v79, s24, v105
	v_mul_f16_e32 v107, 0x2de8, v107
	v_add_f16_e32 v27, v67, v27
	v_add_f16_e32 v23, v44, v23
	v_fma_f16 v44, v79, s31, v105
	v_add_f16_e32 v192, v193, v192
	v_fma_f16 v193, v80, s27, v107
	v_mul_f16_e32 v109, 0xb461, v109
	v_add_f16_e32 v27, v68, v27
	v_add_f16_e32 v23, v44, v23
	;; [unrolled: 6-line block ×7, first 2 shown]
	v_fma_f16 v44, v85, s6, -v116
	v_add_f16_e32 v193, v64, v193
	v_fma_f16 v194, v86, s19, v118
	v_mul_f16_e32 v120, 0xbb29, v120
	v_add_f16_e32 v27, v74, v27
	v_add_f16_e32 v44, v64, v44
	v_fma_f16 v45, v86, s19, -v118
	v_add_f16_e32 v193, v194, v193
	v_fma_f16 v194, v87, s22, v120
	v_mul_f16_e32 v122, 0xbbf7, v122
	v_add_f16_e32 v27, v75, v27
	v_add_f16_e32 v44, v45, v44
	;; [unrolled: 6-line block ×6, first 2 shown]
	v_fma_f16 v45, v92, s5, -v128
	v_add_f16_e32 v193, v194, v193
	v_fma_f16 v194, v93, s18, v130
	v_add_f16_e32 v27, v51, v27
	v_add_f16_e32 v44, v45, v44
	v_fma_f16 v45, v93, s18, -v130
	v_add_f16_e32 v193, v194, v193
	v_add_f16_e32 v27, v50, v27
	;; [unrolled: 1-line block ×3, first 2 shown]
	v_mul_lo_u16_e32 v45, 17, v20
	v_lshl_add_u32 v25, v45, 2, v25
	v_pack_b32_f16 v45, v193, v192
	v_pack_b32_f16 v26, v26, v27
	ds_write2_b32 v25, v26, v45 offset1:1
	v_pack_b32_f16 v26, v166, v157
	v_pack_b32_f16 v27, v184, v175
	ds_write2_b32 v25, v27, v26 offset0:2 offset1:3
	v_pack_b32_f16 v26, v125, v106
	v_pack_b32_f16 v27, v148, v139
	ds_write2_b32 v25, v27, v26 offset0:4 offset1:5
	;; [unrolled: 3-line block ×6, first 2 shown]
	v_pack_b32_f16 v26, v43, v42
	v_pack_b32_f16 v27, v41, v40
	;; [unrolled: 1-line block ×3, first 2 shown]
	ds_write2_b32 v25, v27, v26 offset0:14 offset1:15
	ds_write_b32 v25, v23 offset:64
.LBB0_13:
	s_or_b64 exec, exec, s[0:1]
	v_add_u32_e32 v23, 0x400, v15
	s_waitcnt lgkmcnt(0)
	s_barrier
	ds_read2_b32 v[28:29], v23 offset0:152 offset1:254
	v_add_u32_e32 v25, 0xc00, v15
	ds_read2_b32 v[30:31], v25 offset0:48 offset1:150
	v_add_u32_e32 v51, 0x800, v15
	ds_read2_b32 v[42:43], v51 offset0:100 offset1:202
	s_waitcnt lgkmcnt(2)
	v_lshrrev_b32_e32 v47, 16, v28
	v_mul_f16_sdwa v70, v34, v47 dst_sel:DWORD dst_unused:UNUSED_PAD src0_sel:WORD_1 src1_sel:DWORD
	s_waitcnt lgkmcnt(1)
	v_lshrrev_b32_e32 v48, 16, v30
	v_fma_f16 v70, v34, v28, v70
	v_mul_f16_sdwa v28, v34, v28 dst_sel:DWORD dst_unused:UNUSED_PAD src0_sel:WORD_1 src1_sel:DWORD
	v_fma_f16 v28, v34, v47, -v28
	v_mul_f16_sdwa v34, v35, v48 dst_sel:DWORD dst_unused:UNUSED_PAD src0_sel:WORD_1 src1_sel:DWORD
	v_add_u32_e32 v52, 0xe00, v15
	v_lshrrev_b32_e32 v53, 16, v29
	v_fma_f16 v34, v35, v30, v34
	v_mul_f16_sdwa v30, v35, v30 dst_sel:DWORD dst_unused:UNUSED_PAD src0_sel:WORD_1 src1_sel:DWORD
	ds_read2_b32 v[44:45], v52 offset0:124 offset1:226
	v_fma_f16 v30, v35, v48, -v30
	v_mul_f16_sdwa v35, v32, v53 dst_sel:DWORD dst_unused:UNUSED_PAD src0_sel:WORD_1 src1_sel:DWORD
	v_lshrrev_b32_e32 v54, 16, v31
	v_fma_f16 v35, v32, v29, v35
	v_mul_f16_sdwa v29, v32, v29 dst_sel:DWORD dst_unused:UNUSED_PAD src0_sel:WORD_1 src1_sel:DWORD
	v_fma_f16 v29, v32, v53, -v29
	v_mul_f16_sdwa v32, v33, v54 dst_sel:DWORD dst_unused:UNUSED_PAD src0_sel:WORD_1 src1_sel:DWORD
	s_waitcnt lgkmcnt(1)
	v_lshrrev_b32_e32 v65, 16, v42
	v_fma_f16 v32, v33, v31, v32
	v_mul_f16_sdwa v31, v33, v31 dst_sel:DWORD dst_unused:UNUSED_PAD src0_sel:WORD_1 src1_sel:DWORD
	v_fma_f16 v31, v33, v54, -v31
	v_mul_f16_sdwa v33, v38, v65 dst_sel:DWORD dst_unused:UNUSED_PAD src0_sel:WORD_1 src1_sel:DWORD
	s_waitcnt lgkmcnt(0)
	v_lshrrev_b32_e32 v66, 16, v44
	v_fma_f16 v33, v38, v42, v33
	v_mul_f16_sdwa v42, v38, v42 dst_sel:DWORD dst_unused:UNUSED_PAD src0_sel:WORD_1 src1_sel:DWORD
	v_fma_f16 v38, v38, v65, -v42
	v_mul_f16_sdwa v42, v39, v66 dst_sel:DWORD dst_unused:UNUSED_PAD src0_sel:WORD_1 src1_sel:DWORD
	ds_read2_b32 v[26:27], v15 offset1:102
	v_lshrrev_b32_e32 v68, 16, v43
	v_fma_f16 v42, v39, v44, v42
	v_mul_f16_sdwa v44, v39, v44 dst_sel:DWORD dst_unused:UNUSED_PAD src0_sel:WORD_1 src1_sel:DWORD
	v_fma_f16 v39, v39, v66, -v44
	v_mul_f16_sdwa v44, v36, v68 dst_sel:DWORD dst_unused:UNUSED_PAD src0_sel:WORD_1 src1_sel:DWORD
	v_lshrrev_b32_e32 v69, 16, v45
	v_fma_f16 v44, v36, v43, v44
	v_mul_f16_sdwa v43, v36, v43 dst_sel:DWORD dst_unused:UNUSED_PAD src0_sel:WORD_1 src1_sel:DWORD
	v_fma_f16 v36, v36, v68, -v43
	v_mul_f16_sdwa v43, v37, v69 dst_sel:DWORD dst_unused:UNUSED_PAD src0_sel:WORD_1 src1_sel:DWORD
	v_fma_f16 v43, v37, v45, v43
	v_mul_f16_sdwa v45, v37, v45 dst_sel:DWORD dst_unused:UNUSED_PAD src0_sel:WORD_1 src1_sel:DWORD
	v_add_f16_e32 v47, v70, v34
	s_waitcnt lgkmcnt(0)
	v_lshrrev_b32_e32 v46, 16, v26
	v_add_u32_e32 v50, 0x200, v15
	v_fma_f16 v37, v37, v69, -v45
	v_add_f16_e32 v45, v26, v70
	v_fma_f16 v26, v47, -0.5, v26
	v_sub_f16_e32 v47, v28, v30
	s_mov_b32 s1, 0xbaee
	s_movk_i32 s0, 0x3aee
	ds_read2_b32 v[40:41], v50 offset0:76 offset1:178
	v_fma_f16 v48, v47, s1, v26
	v_fma_f16 v26, v47, s0, v26
	v_add_f16_e32 v47, v46, v28
	v_add_f16_e32 v28, v28, v30
	;; [unrolled: 1-line block ×3, first 2 shown]
	v_fma_f16 v28, v28, -0.5, v46
	v_sub_f16_e32 v30, v70, v34
	v_add_f16_e32 v46, v35, v32
	v_lshrrev_b32_e32 v49, 16, v27
	v_add_f16_e32 v45, v45, v34
	v_fma_f16 v34, v30, s0, v28
	v_fma_f16 v28, v30, s1, v28
	v_add_f16_e32 v30, v27, v35
	v_fma_f16 v27, v46, -0.5, v27
	v_sub_f16_e32 v46, v29, v31
	v_fma_f16 v53, v46, s1, v27
	v_fma_f16 v27, v46, s0, v27
	v_add_f16_e32 v46, v49, v29
	v_add_f16_e32 v29, v29, v31
	;; [unrolled: 1-line block ×3, first 2 shown]
	v_fma_f16 v29, v29, -0.5, v49
	v_sub_f16_e32 v31, v35, v32
	v_add_f16_e32 v35, v33, v42
	s_waitcnt lgkmcnt(0)
	v_lshrrev_b32_e32 v64, 16, v40
	v_add_f16_e32 v30, v30, v32
	v_fma_f16 v32, v31, s0, v29
	v_fma_f16 v29, v31, s1, v29
	v_add_f16_e32 v31, v40, v33
	v_fma_f16 v35, v35, -0.5, v40
	v_sub_f16_e32 v40, v38, v39
	v_fma_f16 v49, v40, s1, v35
	v_fma_f16 v35, v40, s0, v35
	v_add_f16_e32 v40, v64, v38
	v_add_f16_e32 v38, v38, v39
	;; [unrolled: 1-line block ×3, first 2 shown]
	v_fma_f16 v38, v38, -0.5, v64
	v_sub_f16_e32 v33, v33, v42
	v_add_f16_e32 v42, v44, v43
	v_lshrrev_b32_e32 v67, 16, v41
	v_add_f16_e32 v40, v40, v39
	v_fma_f16 v39, v33, s0, v38
	v_fma_f16 v33, v33, s1, v38
	v_add_f16_e32 v38, v41, v44
	v_fma_f16 v41, v42, -0.5, v41
	v_sub_f16_e32 v42, v36, v37
	v_fma_f16 v54, v42, s1, v41
	v_fma_f16 v41, v42, s0, v41
	v_add_f16_e32 v42, v67, v36
	v_add_f16_e32 v36, v36, v37
	;; [unrolled: 1-line block ×3, first 2 shown]
	v_fma_f16 v36, v36, -0.5, v67
	v_sub_f16_e32 v37, v44, v43
	v_add_f16_e32 v38, v38, v43
	v_fma_f16 v43, v37, s0, v36
	v_fma_f16 v36, v37, s1, v36
	v_pack_b32_f16 v37, v45, v47
	v_pack_b32_f16 v34, v48, v34
	;; [unrolled: 1-line block ×3, first 2 shown]
	s_barrier
	ds_write2_b32 v21, v37, v34 offset1:17
	ds_write_b32 v21, v26 offset:136
	v_pack_b32_f16 v21, v30, v46
	v_pack_b32_f16 v26, v53, v32
	ds_write2_b32 v55, v21, v26 offset1:17
	v_pack_b32_f16 v21, v27, v29
	ds_write_b32 v55, v21 offset:136
	v_pack_b32_f16 v21, v31, v40
	v_pack_b32_f16 v26, v49, v39
	ds_write2_b32 v56, v21, v26 offset1:17
	v_pack_b32_f16 v21, v35, v33
	;; [unrolled: 5-line block ×3, first 2 shown]
	ds_write_b32 v57, v21 offset:136
	s_waitcnt lgkmcnt(0)
	s_barrier
	ds_read2_b32 v[26:27], v15 offset1:102
	ds_read2_b32 v[28:29], v50 offset0:76 offset1:178
	ds_read2_b32 v[30:31], v51 offset0:100 offset1:202
	;; [unrolled: 1-line block ×5, first 2 shown]
	s_waitcnt lgkmcnt(4)
	v_lshrrev_b32_e32 v38, 16, v29
	v_mul_f16_sdwa v49, v8, v38 dst_sel:DWORD dst_unused:UNUSED_PAD src0_sel:WORD_1 src1_sel:DWORD
	s_waitcnt lgkmcnt(3)
	v_lshrrev_b32_e32 v39, 16, v30
	v_fma_f16 v49, v8, v29, v49
	v_mul_f16_sdwa v29, v8, v29 dst_sel:DWORD dst_unused:UNUSED_PAD src0_sel:WORD_1 src1_sel:DWORD
	v_fma_f16 v8, v8, v38, -v29
	v_mul_f16_sdwa v29, v9, v39 dst_sel:DWORD dst_unused:UNUSED_PAD src0_sel:WORD_1 src1_sel:DWORD
	s_waitcnt lgkmcnt(2)
	v_lshrrev_b32_e32 v40, 16, v33
	v_fma_f16 v29, v9, v30, v29
	v_mul_f16_sdwa v30, v9, v30 dst_sel:DWORD dst_unused:UNUSED_PAD src0_sel:WORD_1 src1_sel:DWORD
	v_fma_f16 v9, v9, v39, -v30
	;; [unrolled: 6-line block ×3, first 2 shown]
	v_mul_f16_sdwa v33, v12, v42 dst_sel:DWORD dst_unused:UNUSED_PAD src0_sel:WORD_1 src1_sel:DWORD
	v_lshrrev_b32_e32 v43, 16, v31
	v_fma_f16 v33, v12, v34, v33
	v_mul_f16_sdwa v34, v12, v34 dst_sel:DWORD dst_unused:UNUSED_PAD src0_sel:WORD_1 src1_sel:DWORD
	v_fma_f16 v12, v12, v42, -v34
	v_mul_f16_sdwa v34, v13, v43 dst_sel:DWORD dst_unused:UNUSED_PAD src0_sel:WORD_1 src1_sel:DWORD
	s_waitcnt lgkmcnt(0)
	v_lshrrev_b32_e32 v44, 16, v36
	v_fma_f16 v34, v13, v31, v34
	v_mul_f16_sdwa v31, v13, v31 dst_sel:DWORD dst_unused:UNUSED_PAD src0_sel:WORD_1 src1_sel:DWORD
	v_fma_f16 v13, v13, v43, -v31
	v_mul_f16_sdwa v31, v14, v44 dst_sel:DWORD dst_unused:UNUSED_PAD src0_sel:WORD_1 src1_sel:DWORD
	v_lshrrev_b32_e32 v46, 16, v35
	v_fma_f16 v31, v14, v36, v31
	v_mul_f16_sdwa v36, v14, v36 dst_sel:DWORD dst_unused:UNUSED_PAD src0_sel:WORD_1 src1_sel:DWORD
	v_fma_f16 v14, v14, v44, -v36
	v_mul_f16_sdwa v36, v16, v46 dst_sel:DWORD dst_unused:UNUSED_PAD src0_sel:WORD_1 src1_sel:DWORD
	;; [unrolled: 5-line block ×3, first 2 shown]
	v_lshrrev_b32_e32 v48, 16, v37
	v_fma_f16 v35, v17, v32, v35
	v_mul_f16_sdwa v32, v17, v32 dst_sel:DWORD dst_unused:UNUSED_PAD src0_sel:WORD_1 src1_sel:DWORD
	v_lshrrev_b32_e32 v21, 16, v26
	v_fma_f16 v17, v17, v47, -v32
	v_mul_f16_sdwa v32, v18, v48 dst_sel:DWORD dst_unused:UNUSED_PAD src0_sel:WORD_1 src1_sel:DWORD
	v_fma_f16 v32, v18, v37, v32
	v_mul_f16_sdwa v37, v18, v37 dst_sel:DWORD dst_unused:UNUSED_PAD src0_sel:WORD_1 src1_sel:DWORD
	v_sub_f16_e32 v29, v26, v29
	v_sub_f16_e32 v9, v21, v9
	;; [unrolled: 1-line block ×4, first 2 shown]
	v_lshrrev_b32_e32 v41, 16, v27
	v_fma_f16 v18, v18, v48, -v37
	v_fma_f16 v26, v26, 2.0, -v29
	v_fma_f16 v21, v21, 2.0, -v9
	;; [unrolled: 1-line block ×4, first 2 shown]
	v_sub_f16_e32 v37, v26, v37
	v_sub_f16_e32 v8, v21, v8
	v_add_f16_e32 v10, v29, v10
	v_sub_f16_e32 v30, v9, v30
	v_sub_f16_e32 v34, v27, v34
	;; [unrolled: 1-line block ×5, first 2 shown]
	v_lshrrev_b32_e32 v45, 16, v28
	v_fma_f16 v26, v26, 2.0, -v37
	v_fma_f16 v21, v21, 2.0, -v8
	;; [unrolled: 1-line block ×8, first 2 shown]
	v_sub_f16_e32 v33, v27, v33
	v_sub_f16_e32 v12, v38, v12
	v_add_f16_e32 v14, v34, v14
	v_sub_f16_e32 v31, v13, v31
	v_sub_f16_e32 v35, v28, v35
	;; [unrolled: 1-line block ×5, first 2 shown]
	v_pack_b32_f16 v21, v26, v21
	v_pack_b32_f16 v9, v29, v9
	v_fma_f16 v27, v27, 2.0, -v33
	v_fma_f16 v38, v38, 2.0, -v12
	;; [unrolled: 1-line block ×8, first 2 shown]
	s_barrier
	ds_write2_b32 v58, v21, v9 offset1:51
	v_pack_b32_f16 v8, v37, v8
	v_pack_b32_f16 v9, v10, v30
	v_sub_f16_e32 v36, v28, v36
	v_sub_f16_e32 v16, v39, v16
	v_add_f16_e32 v18, v35, v18
	v_sub_f16_e32 v32, v17, v32
	ds_write2_b32 v58, v8, v9 offset0:102 offset1:153
	v_pack_b32_f16 v8, v27, v38
	v_pack_b32_f16 v9, v34, v13
	v_fma_f16 v28, v28, 2.0, -v36
	v_fma_f16 v39, v39, 2.0, -v16
	;; [unrolled: 1-line block ×4, first 2 shown]
	ds_write2_b32 v59, v8, v9 offset1:51
	v_pack_b32_f16 v8, v33, v12
	v_pack_b32_f16 v9, v14, v31
	ds_write2_b32 v59, v8, v9 offset0:102 offset1:153
	v_pack_b32_f16 v8, v28, v39
	v_pack_b32_f16 v9, v35, v17
	ds_write2_b32 v60, v8, v9 offset1:51
	v_pack_b32_f16 v8, v36, v16
	v_pack_b32_f16 v9, v18, v32
	ds_write2_b32 v60, v8, v9 offset0:102 offset1:153
	s_waitcnt lgkmcnt(0)
	s_barrier
	ds_read2_b32 v[8:9], v15 offset1:102
	ds_read2_b32 v[12:13], v50 offset0:76 offset1:178
	ds_read2_b32 v[14:15], v23 offset0:152 offset1:254
	ds_read2_b32 v[16:17], v51 offset0:100 offset1:202
	ds_read2_b32 v[26:27], v25 offset0:48 offset1:150
	ds_read2_b32 v[28:29], v52 offset0:124 offset1:226
	s_waitcnt lgkmcnt(4)
	v_lshrrev_b32_e32 v18, 16, v12
	v_mul_f16_sdwa v37, v0, v18 dst_sel:DWORD dst_unused:UNUSED_PAD src0_sel:WORD_1 src1_sel:DWORD
	s_waitcnt lgkmcnt(3)
	v_lshrrev_b32_e32 v21, 16, v14
	v_fma_f16 v37, v0, v12, v37
	v_mul_f16_sdwa v12, v0, v12 dst_sel:DWORD dst_unused:UNUSED_PAD src0_sel:WORD_1 src1_sel:DWORD
	v_fma_f16 v0, v0, v18, -v12
	v_mul_f16_sdwa v12, v1, v21 dst_sel:DWORD dst_unused:UNUSED_PAD src0_sel:WORD_1 src1_sel:DWORD
	s_waitcnt lgkmcnt(2)
	v_lshrrev_b32_e32 v23, 16, v16
	v_fma_f16 v12, v1, v14, v12
	v_mul_f16_sdwa v14, v1, v14 dst_sel:DWORD dst_unused:UNUSED_PAD src0_sel:WORD_1 src1_sel:DWORD
	v_fma_f16 v1, v1, v21, -v14
	v_mul_f16_sdwa v14, v2, v23 dst_sel:DWORD dst_unused:UNUSED_PAD src0_sel:WORD_1 src1_sel:DWORD
	v_lshrrev_b32_e32 v32, 16, v13
	v_fma_f16 v14, v2, v16, v14
	v_mul_f16_sdwa v16, v2, v16 dst_sel:DWORD dst_unused:UNUSED_PAD src0_sel:WORD_1 src1_sel:DWORD
	v_fma_f16 v2, v2, v23, -v16
	v_mul_f16_sdwa v23, v4, v32 dst_sel:DWORD dst_unused:UNUSED_PAD src0_sel:WORD_1 src1_sel:DWORD
	;; [unrolled: 5-line block ×3, first 2 shown]
	s_waitcnt lgkmcnt(1)
	v_lshrrev_b32_e32 v25, 16, v26
	v_lshrrev_b32_e32 v34, 16, v17
	v_fma_f16 v13, v5, v15, v13
	v_mul_f16_sdwa v15, v5, v15 dst_sel:DWORD dst_unused:UNUSED_PAD src0_sel:WORD_1 src1_sel:DWORD
	s_waitcnt lgkmcnt(0)
	v_lshrrev_b32_e32 v30, 16, v28
	v_mul_f16_sdwa v16, v3, v25 dst_sel:DWORD dst_unused:UNUSED_PAD src0_sel:WORD_1 src1_sel:DWORD
	v_mul_f16_sdwa v18, v3, v26 dst_sel:DWORD dst_unused:UNUSED_PAD src0_sel:WORD_1 src1_sel:DWORD
	v_fma_f16 v5, v5, v33, -v15
	v_mul_f16_sdwa v15, v6, v34 dst_sel:DWORD dst_unused:UNUSED_PAD src0_sel:WORD_1 src1_sel:DWORD
	v_lshrrev_b32_e32 v35, 16, v27
	v_fma_f16 v16, v3, v26, v16
	v_fma_f16 v3, v3, v25, -v18
	v_mul_f16_sdwa v18, v61, v30 dst_sel:DWORD dst_unused:UNUSED_PAD src0_sel:WORD_1 src1_sel:DWORD
	v_fma_f16 v15, v6, v17, v15
	v_mul_f16_sdwa v17, v6, v17 dst_sel:DWORD dst_unused:UNUSED_PAD src0_sel:WORD_1 src1_sel:DWORD
	v_lshrrev_b32_e32 v36, 16, v29
	v_fma_f16 v18, v61, v28, v18
	v_mul_f16_sdwa v21, v61, v28 dst_sel:DWORD dst_unused:UNUSED_PAD src0_sel:WORD_1 src1_sel:DWORD
	v_fma_f16 v6, v6, v34, -v17
	v_mul_f16_sdwa v17, v7, v35 dst_sel:DWORD dst_unused:UNUSED_PAD src0_sel:WORD_1 src1_sel:DWORD
	v_mul_f16_sdwa v25, v7, v27 dst_sel:DWORD dst_unused:UNUSED_PAD src0_sel:WORD_1 src1_sel:DWORD
	v_add_f16_e32 v28, v12, v16
	v_lshrrev_b32_e32 v10, 16, v8
	v_fma_f16 v17, v7, v27, v17
	v_fma_f16 v7, v7, v35, -v25
	v_mul_f16_sdwa v25, v62, v36 dst_sel:DWORD dst_unused:UNUSED_PAD src0_sel:WORD_1 src1_sel:DWORD
	v_add_f16_e32 v27, v8, v12
	v_fma_f16 v8, v28, -0.5, v8
	v_sub_f16_e32 v28, v1, v3
	v_fma_f16 v25, v62, v29, v25
	v_mul_f16_sdwa v26, v62, v29 dst_sel:DWORD dst_unused:UNUSED_PAD src0_sel:WORD_1 src1_sel:DWORD
	v_fma_f16 v29, v28, s1, v8
	v_fma_f16 v8, v28, s0, v8
	v_add_f16_e32 v28, v10, v1
	v_fma_f16 v21, v61, v30, -v21
	v_add_f16_e32 v28, v28, v3
	v_add_f16_e32 v1, v1, v3
	v_sub_f16_e32 v3, v12, v16
	v_add_f16_e32 v12, v14, v18
	v_add_f16_e32 v27, v27, v16
	v_fma_f16 v12, v12, -0.5, v37
	v_sub_f16_e32 v16, v2, v21
	v_fma_f16 v30, v16, s1, v12
	v_fma_f16 v12, v16, s0, v12
	v_add_f16_e32 v16, v0, v2
	v_add_f16_e32 v2, v2, v21
	v_fma_f16 v1, v1, -0.5, v10
	v_fma_f16 v0, v2, -0.5, v0
	v_sub_f16_e32 v2, v14, v18
	v_fma_f16 v10, v3, s0, v1
	v_fma_f16 v1, v3, s1, v1
	v_add_f16_e32 v3, v37, v14
	v_fma_f16 v14, v2, s0, v0
	v_add_f16_e32 v3, v3, v18
	v_fma_f16 v0, v2, s1, v0
	v_mul_f16_e32 v18, 0xbaee, v14
	v_mul_f16_e32 v14, 0.5, v14
	v_mul_f16_e32 v32, 0xbaee, v0
	v_fma_f16 v14, v30, s0, v14
	v_mul_f16_e32 v0, -0.5, v0
	v_fma_f16 v18, v30, 0.5, v18
	v_add_f16_e32 v30, v10, v14
	v_fma_f16 v0, v12, s0, v0
	v_sub_f16_e32 v10, v10, v14
	v_add_f16_e32 v14, v13, v17
	v_lshrrev_b32_e32 v31, 16, v9
	v_fma_f16 v32, v12, -0.5, v32
	v_add_f16_e32 v12, v1, v0
	v_sub_f16_e32 v0, v1, v0
	v_add_f16_e32 v1, v9, v13
	v_fma_f16 v9, v14, -0.5, v9
	v_sub_f16_e32 v14, v5, v7
	v_add_f16_e32 v2, v27, v3
	v_sub_f16_e32 v3, v27, v3
	v_fma_f16 v27, v14, s1, v9
	v_fma_f16 v9, v14, s0, v9
	v_add_f16_e32 v14, v31, v5
	v_add_f16_e32 v5, v5, v7
	v_fma_f16 v26, v62, v36, -v26
	v_add_f16_e32 v1, v1, v17
	v_add_f16_e32 v14, v14, v7
	v_fma_f16 v5, v5, -0.5, v31
	v_sub_f16_e32 v7, v13, v17
	v_add_f16_e32 v17, v15, v25
	v_add_f16_e32 v16, v16, v21
	v_fma_f16 v13, v7, s0, v5
	v_fma_f16 v5, v7, s1, v5
	v_add_f16_e32 v7, v23, v15
	v_fma_f16 v17, v17, -0.5, v23
	v_sub_f16_e32 v23, v6, v26
	v_add_f16_e32 v34, v28, v16
	v_sub_f16_e32 v16, v28, v16
	v_fma_f16 v28, v23, s1, v17
	v_fma_f16 v17, v23, s0, v17
	v_add_f16_e32 v23, v4, v6
	v_add_f16_e32 v6, v6, v26
	v_fma_f16 v4, v6, -0.5, v4
	v_sub_f16_e32 v6, v15, v25
	v_fma_f16 v15, v6, s0, v4
	v_fma_f16 v4, v6, s1, v4
	v_add_f16_e32 v21, v29, v18
	v_sub_f16_e32 v18, v29, v18
	v_add_f16_e32 v7, v7, v25
	v_mul_f16_e32 v25, 0xbaee, v15
	v_mul_f16_e32 v29, 0xbaee, v4
	v_mul_f16_e32 v15, 0.5, v15
	v_mul_f16_e32 v4, -0.5, v4
	v_add_f16_e32 v33, v8, v32
	v_fma_f16 v15, v28, s0, v15
	v_fma_f16 v4, v17, s0, v4
	v_sub_f16_e32 v8, v8, v32
	v_add_f16_e32 v23, v23, v26
	v_fma_f16 v25, v28, 0.5, v25
	v_fma_f16 v29, v17, -0.5, v29
	v_add_f16_e32 v28, v13, v15
	v_add_f16_e32 v17, v5, v4
	v_sub_f16_e32 v13, v13, v15
	v_sub_f16_e32 v15, v5, v4
	v_pack_b32_f16 v2, v2, v34
	v_pack_b32_f16 v4, v33, v12
	;; [unrolled: 1-line block ×3, first 2 shown]
	v_add_u32_e32 v5, 0x600, v11
	v_add_f16_e32 v6, v1, v7
	v_add_f16_e32 v32, v14, v23
	ds_write_b32 v63, v2
	ds_write2_b32 v5, v4, v3 offset0:24 offset1:228
	v_pack_b32_f16 v3, v18, v10
	v_pack_b32_f16 v0, v8, v0
	v_add_u32_e32 v4, 0xc00, v11
	v_add_f16_e32 v26, v27, v25
	v_add_f16_e32 v31, v9, v29
	v_pack_b32_f16 v2, v21, v30
	ds_write2_b32 v4, v3, v0 offset0:48 offset1:252
	v_pack_b32_f16 v0, v6, v32
	v_sub_f16_e32 v1, v1, v7
	v_sub_f16_e32 v7, v27, v25
	;; [unrolled: 1-line block ×3, first 2 shown]
	ds_write2_b32 v11, v0, v2 offset0:102 offset1:204
	v_pack_b32_f16 v0, v26, v28
	v_pack_b32_f16 v2, v31, v17
	v_add_u32_e32 v3, 0x300, v19
	v_sub_f16_e32 v9, v9, v29
	ds_write2_b32 v3, v0, v2 offset0:12 offset1:216
	v_pack_b32_f16 v0, v1, v14
	v_pack_b32_f16 v1, v7, v13
	v_add_u32_e32 v2, 0x900, v19
	ds_write2_b32 v2, v0, v1 offset0:36 offset1:240
	v_pack_b32_f16 v0, v9, v15
	ds_write_b32 v19, v0 offset:4080
	s_waitcnt lgkmcnt(0)
	s_barrier
	s_and_b64 exec, exec, vcc
	s_cbranch_execz .LBB0_15
; %bb.14:
	global_load_dword v3, v22, s[12:13]
	ds_read_b32 v16, v63
	v_mad_u64_u32 v[6:7], s[0:1], s10, v24, 0
	v_mad_u64_u32 v[8:9], s[0:1], s8, v20, 0
	v_mov_b32_e32 v10, v7
	s_waitcnt lgkmcnt(0)
	v_lshrrev_b32_e32 v7, 16, v16
	v_mov_b32_e32 v12, v9
	v_mad_u64_u32 v[14:15], s[0:1], s11, v24, v[10:11]
	s_mov_b32 s6, 0x1ac5701b
	v_mad_u64_u32 v[12:13], s[0:1], s9, v20, v[12:13]
	s_mov_b32 s7, 0x3f4ac570
	s_movk_i32 s16, 0x1ff
	v_mov_b32_e32 v1, s15
	s_movk_i32 s15, 0xffe
	v_mov_b32_e32 v2, 0x7c00
	;; [unrolled: 2-line block ×3, first 2 shown]
	s_mov_b32 s14, 0x8000
	s_mov_b32 s17, 0xffff
	s_mul_i32 s11, s9, 0x120
	s_waitcnt vmcnt(0)
	v_mul_f16_sdwa v9, v7, v3 dst_sel:DWORD dst_unused:UNUSED_PAD src0_sel:DWORD src1_sel:WORD_1
	v_mul_f16_sdwa v10, v16, v3 dst_sel:DWORD dst_unused:UNUSED_PAD src0_sel:DWORD src1_sel:WORD_1
	v_fma_f16 v9, v16, v3, v9
	v_fma_f16 v3, v3, v7, -v10
	v_cvt_f32_f16_e32 v10, v9
	v_cvt_f32_f16_e32 v3, v3
	v_mov_b32_e32 v9, v12
	v_mov_b32_e32 v7, v14
	v_cvt_f64_f32_e32 v[12:13], v10
	v_cvt_f64_f32_e32 v[14:15], v3
	v_mul_f64 v[12:13], v[12:13], s[6:7]
	v_mul_f64 v[14:15], v[14:15], s[6:7]
	v_and_or_b32 v3, v13, s16, v12
	v_and_or_b32 v14, v15, s16, v14
	v_cmp_ne_u32_e32 vcc, 0, v3
	v_lshrrev_b32_e32 v10, 8, v13
	v_bfe_u32 v12, v13, 20, 11
	v_cndmask_b32_e64 v3, 0, 1, vcc
	v_cmp_ne_u32_e32 vcc, 0, v14
	v_lshrrev_b32_e32 v16, 8, v15
	v_bfe_u32 v17, v15, 20, 11
	v_sub_u32_e32 v18, 0x3f1, v12
	v_cndmask_b32_e64 v14, 0, 1, vcc
	v_and_or_b32 v3, v10, s15, v3
	v_sub_u32_e32 v19, 0x3f1, v17
	v_med3_i32 v10, v18, 0, 13
	v_and_or_b32 v14, v16, s15, v14
	v_or_b32_e32 v18, 0x1000, v3
	v_add_u32_e32 v12, 0xfffffc10, v12
	v_med3_i32 v16, v19, 0, 13
	v_cmp_ne_u32_e32 vcc, 0, v3
	v_or_b32_e32 v21, 0x1000, v14
	v_lshrrev_b32_e32 v24, v10, v18
	v_add_u32_e32 v17, 0xfffffc10, v17
	v_lshl_or_b32 v19, v12, 12, v3
	v_cndmask_b32_e64 v3, 0, 1, vcc
	v_cmp_ne_u32_e32 vcc, 0, v14
	v_lshrrev_b32_e32 v25, v16, v21
	v_lshlrev_b32_e32 v10, v10, v24
	v_lshl_or_b32 v23, v17, 12, v14
	v_cndmask_b32_e64 v14, 0, 1, vcc
	v_lshlrev_b32_e32 v16, v16, v25
	v_cmp_ne_u32_e32 vcc, v10, v18
	v_lshl_or_b32 v3, v3, 9, v2
	v_lshl_or_b32 v14, v14, 9, v2
	v_cndmask_b32_e64 v10, 0, 1, vcc
	v_cmp_ne_u32_e32 vcc, v16, v21
	v_or_b32_e32 v10, v24, v10
	v_and_b32_sdwa v13, v13, s14 dst_sel:DWORD dst_unused:UNUSED_PAD src0_sel:WORD_1 src1_sel:DWORD
	v_cndmask_b32_e64 v16, 0, 1, vcc
	v_cmp_gt_i32_e32 vcc, 1, v12
	v_or_b32_e32 v16, v25, v16
	v_lshrrev_b32_e32 v15, 16, v15
	v_cndmask_b32_e32 v10, v19, v10, vcc
	v_cmp_gt_i32_e32 vcc, 1, v17
	v_and_b32_e32 v18, 7, v10
	v_cmp_eq_u32_e64 s[0:1], 3, v18
	v_cndmask_b32_e32 v16, v23, v16, vcc
	v_cmp_lt_i32_e32 vcc, 5, v18
	v_lshrrev_b32_e32 v10, 2, v10
	v_and_b32_e32 v19, 7, v16
	s_or_b64 vcc, s[0:1], vcc
	v_cmp_lt_i32_e64 s[2:3], 5, v19
	v_cmp_eq_u32_e64 s[4:5], 3, v19
	v_addc_co_u32_e32 v10, vcc, 0, v10, vcc
	v_lshrrev_b32_e32 v16, 2, v16
	s_or_b64 vcc, s[4:5], s[2:3]
	v_addc_co_u32_e32 v16, vcc, 0, v16, vcc
	v_cmp_gt_i32_e32 vcc, 31, v12
	v_lshl_add_u64 v[0:1], v[6:7], 2, v[0:1]
	v_lshl_add_u64 v[6:7], v[8:9], 2, v[0:1]
	v_cndmask_b32_e32 v10, v2, v10, vcc
	v_cmp_gt_i32_e32 vcc, 31, v17
	ds_read2_b32 v[8:9], v11 offset0:72 offset1:144
	s_nop 0
	v_cndmask_b32_e32 v16, v2, v16, vcc
	v_cmp_eq_u32_e32 vcc, s10, v12
	s_waitcnt lgkmcnt(0)
	v_lshrrev_b32_e32 v12, 16, v8
	v_cndmask_b32_e32 v3, v10, v3, vcc
	v_cmp_eq_u32_e32 vcc, s10, v17
	v_bitop3_b32 v3, v13, s17, v3 bitop3:0xc8
	s_nop 0
	v_cndmask_b32_e32 v10, v16, v14, vcc
	v_and_or_b32 v10, v15, s14, v10
	v_lshl_or_b32 v3, v10, 16, v3
	global_store_dword v[6:7], v3, off
	global_load_dword v10, v22, s[12:13] offset:288
	v_mov_b32_e32 v3, 0x120
	v_mad_u64_u32 v[6:7], s[0:1], s8, v3, v[6:7]
	v_add_u32_e32 v7, s11, v7
	s_waitcnt vmcnt(0)
	v_mul_f16_sdwa v13, v12, v10 dst_sel:DWORD dst_unused:UNUSED_PAD src0_sel:DWORD src1_sel:WORD_1
	v_mul_f16_sdwa v14, v8, v10 dst_sel:DWORD dst_unused:UNUSED_PAD src0_sel:DWORD src1_sel:WORD_1
	v_fma_f16 v8, v8, v10, v13
	v_fma_f16 v10, v10, v12, -v14
	v_cvt_f32_f16_e32 v8, v8
	v_cvt_f32_f16_e32 v10, v10
	v_cvt_f64_f32_e32 v[12:13], v8
	v_cvt_f64_f32_e32 v[14:15], v10
	v_mul_f64 v[12:13], v[12:13], s[6:7]
	v_mul_f64 v[14:15], v[14:15], s[6:7]
	v_and_or_b32 v8, v13, s16, v12
	v_and_or_b32 v14, v15, s16, v14
	v_cmp_ne_u32_e32 vcc, 0, v8
	v_lshrrev_b32_e32 v10, 8, v13
	v_bfe_u32 v12, v13, 20, 11
	v_cndmask_b32_e64 v8, 0, 1, vcc
	v_cmp_ne_u32_e32 vcc, 0, v14
	v_lshrrev_b32_e32 v16, 8, v15
	v_bfe_u32 v17, v15, 20, 11
	v_sub_u32_e32 v18, 0x3f1, v12
	v_cndmask_b32_e64 v14, 0, 1, vcc
	v_and_or_b32 v8, v10, s15, v8
	v_sub_u32_e32 v19, 0x3f1, v17
	v_med3_i32 v10, v18, 0, 13
	v_and_or_b32 v14, v16, s15, v14
	v_or_b32_e32 v18, 0x1000, v8
	v_add_u32_e32 v12, 0xfffffc10, v12
	v_med3_i32 v16, v19, 0, 13
	v_cmp_ne_u32_e32 vcc, 0, v8
	v_or_b32_e32 v21, 0x1000, v14
	v_lshrrev_b32_e32 v24, v10, v18
	v_add_u32_e32 v17, 0xfffffc10, v17
	v_lshl_or_b32 v19, v12, 12, v8
	v_cndmask_b32_e64 v8, 0, 1, vcc
	v_cmp_ne_u32_e32 vcc, 0, v14
	v_lshrrev_b32_e32 v25, v16, v21
	v_lshlrev_b32_e32 v10, v10, v24
	v_lshl_or_b32 v23, v17, 12, v14
	v_cndmask_b32_e64 v14, 0, 1, vcc
	v_lshlrev_b32_e32 v16, v16, v25
	v_cmp_ne_u32_e32 vcc, v10, v18
	v_lshl_or_b32 v8, v8, 9, v2
	v_lshl_or_b32 v14, v14, 9, v2
	v_cndmask_b32_e64 v10, 0, 1, vcc
	v_cmp_ne_u32_e32 vcc, v16, v21
	v_or_b32_e32 v10, v24, v10
	v_and_b32_sdwa v13, v13, s14 dst_sel:DWORD dst_unused:UNUSED_PAD src0_sel:WORD_1 src1_sel:DWORD
	v_cndmask_b32_e64 v16, 0, 1, vcc
	v_cmp_gt_i32_e32 vcc, 1, v12
	v_or_b32_e32 v16, v25, v16
	v_lshrrev_b32_e32 v15, 16, v15
	v_cndmask_b32_e32 v10, v19, v10, vcc
	v_cmp_gt_i32_e32 vcc, 1, v17
	v_and_b32_e32 v18, 7, v10
	v_cmp_eq_u32_e64 s[0:1], 3, v18
	v_cndmask_b32_e32 v16, v23, v16, vcc
	v_cmp_lt_i32_e32 vcc, 5, v18
	v_lshrrev_b32_e32 v10, 2, v10
	v_and_b32_e32 v19, 7, v16
	s_or_b64 vcc, s[0:1], vcc
	v_cmp_lt_i32_e64 s[2:3], 5, v19
	v_cmp_eq_u32_e64 s[4:5], 3, v19
	v_addc_co_u32_e32 v10, vcc, 0, v10, vcc
	v_lshrrev_b32_e32 v16, 2, v16
	s_or_b64 vcc, s[4:5], s[2:3]
	v_addc_co_u32_e32 v16, vcc, 0, v16, vcc
	v_cmp_gt_i32_e32 vcc, 31, v12
	s_nop 1
	v_cndmask_b32_e32 v10, v2, v10, vcc
	v_cmp_gt_i32_e32 vcc, 31, v17
	s_nop 1
	v_cndmask_b32_e32 v16, v2, v16, vcc
	v_cmp_eq_u32_e32 vcc, s10, v12
	s_nop 1
	v_cndmask_b32_e32 v8, v10, v8, vcc
	v_cmp_eq_u32_e32 vcc, s10, v17
	v_bitop3_b32 v8, v13, s17, v8 bitop3:0xc8
	s_nop 0
	v_cndmask_b32_e32 v10, v16, v14, vcc
	v_and_or_b32 v10, v15, s14, v10
	v_lshl_or_b32 v8, v10, 16, v8
	global_store_dword v[6:7], v8, off
	global_load_dword v8, v22, s[12:13] offset:576
	v_lshrrev_b32_e32 v10, 16, v9
	v_mad_u64_u32 v[6:7], s[0:1], s8, v3, v[6:7]
	v_add_u32_e32 v7, s11, v7
	s_waitcnt vmcnt(0)
	v_mul_f16_sdwa v12, v10, v8 dst_sel:DWORD dst_unused:UNUSED_PAD src0_sel:DWORD src1_sel:WORD_1
	v_mul_f16_sdwa v13, v9, v8 dst_sel:DWORD dst_unused:UNUSED_PAD src0_sel:DWORD src1_sel:WORD_1
	v_fma_f16 v9, v9, v8, v12
	v_fma_f16 v8, v8, v10, -v13
	v_cvt_f32_f16_e32 v9, v9
	v_cvt_f32_f16_e32 v10, v8
	v_cvt_f64_f32_e32 v[8:9], v9
	v_cvt_f64_f32_e32 v[12:13], v10
	v_mul_f64 v[8:9], v[8:9], s[6:7]
	v_mul_f64 v[12:13], v[12:13], s[6:7]
	v_and_or_b32 v8, v9, s16, v8
	v_and_or_b32 v12, v13, s16, v12
	v_cmp_ne_u32_e32 vcc, 0, v8
	v_lshrrev_b32_e32 v10, 8, v9
	v_bfe_u32 v14, v9, 20, 11
	v_cndmask_b32_e64 v8, 0, 1, vcc
	v_cmp_ne_u32_e32 vcc, 0, v12
	v_lshrrev_b32_e32 v15, 8, v13
	v_bfe_u32 v16, v13, 20, 11
	v_sub_u32_e32 v17, 0x3f1, v14
	v_cndmask_b32_e64 v12, 0, 1, vcc
	v_and_or_b32 v8, v10, s15, v8
	v_sub_u32_e32 v18, 0x3f1, v16
	v_med3_i32 v10, v17, 0, 13
	v_and_or_b32 v12, v15, s15, v12
	v_or_b32_e32 v17, 0x1000, v8
	v_add_u32_e32 v14, 0xfffffc10, v14
	v_med3_i32 v15, v18, 0, 13
	v_cmp_ne_u32_e32 vcc, 0, v8
	v_or_b32_e32 v19, 0x1000, v12
	v_lshrrev_b32_e32 v23, v10, v17
	v_add_u32_e32 v16, 0xfffffc10, v16
	v_lshl_or_b32 v18, v14, 12, v8
	v_cndmask_b32_e64 v8, 0, 1, vcc
	v_cmp_ne_u32_e32 vcc, 0, v12
	v_lshrrev_b32_e32 v24, v15, v19
	v_lshlrev_b32_e32 v10, v10, v23
	v_lshl_or_b32 v21, v16, 12, v12
	v_cndmask_b32_e64 v12, 0, 1, vcc
	v_lshlrev_b32_e32 v15, v15, v24
	v_cmp_ne_u32_e32 vcc, v10, v17
	v_lshl_or_b32 v8, v8, 9, v2
	v_lshl_or_b32 v12, v12, 9, v2
	v_cndmask_b32_e64 v10, 0, 1, vcc
	v_cmp_ne_u32_e32 vcc, v15, v19
	v_or_b32_e32 v10, v23, v10
	v_and_b32_sdwa v9, v9, s14 dst_sel:DWORD dst_unused:UNUSED_PAD src0_sel:WORD_1 src1_sel:DWORD
	v_cndmask_b32_e64 v15, 0, 1, vcc
	v_cmp_gt_i32_e32 vcc, 1, v14
	v_or_b32_e32 v15, v24, v15
	v_lshrrev_b32_e32 v13, 16, v13
	v_cndmask_b32_e32 v10, v18, v10, vcc
	v_cmp_gt_i32_e32 vcc, 1, v16
	v_and_b32_e32 v17, 7, v10
	v_cmp_eq_u32_e64 s[0:1], 3, v17
	v_cndmask_b32_e32 v15, v21, v15, vcc
	v_cmp_lt_i32_e32 vcc, 5, v17
	v_lshrrev_b32_e32 v10, 2, v10
	v_and_b32_e32 v18, 7, v15
	s_or_b64 vcc, s[0:1], vcc
	v_cmp_lt_i32_e64 s[2:3], 5, v18
	v_cmp_eq_u32_e64 s[4:5], 3, v18
	v_addc_co_u32_e32 v10, vcc, 0, v10, vcc
	v_lshrrev_b32_e32 v15, 2, v15
	s_or_b64 vcc, s[4:5], s[2:3]
	v_addc_co_u32_e32 v15, vcc, 0, v15, vcc
	v_cmp_gt_i32_e32 vcc, 31, v14
	s_nop 1
	v_cndmask_b32_e32 v10, v2, v10, vcc
	v_cmp_gt_i32_e32 vcc, 31, v16
	s_nop 1
	v_cndmask_b32_e32 v15, v2, v15, vcc
	v_cmp_eq_u32_e32 vcc, s10, v14
	s_nop 1
	v_cndmask_b32_e32 v8, v10, v8, vcc
	v_cmp_eq_u32_e32 vcc, s10, v16
	v_bitop3_b32 v8, v9, s17, v8 bitop3:0xc8
	s_nop 0
	v_cndmask_b32_e32 v10, v15, v12, vcc
	v_and_or_b32 v10, v13, s14, v10
	v_lshl_or_b32 v8, v10, 16, v8
	global_store_dword v[6:7], v8, off
	global_load_dword v10, v22, s[12:13] offset:864
	v_add_u32_e32 v8, 0x200, v11
	ds_read2_b32 v[8:9], v8 offset0:88 offset1:160
	v_mad_u64_u32 v[6:7], s[0:1], s8, v3, v[6:7]
	v_add_u32_e32 v7, s11, v7
	s_waitcnt lgkmcnt(0)
	v_lshrrev_b32_e32 v12, 16, v8
	s_waitcnt vmcnt(0)
	v_mul_f16_sdwa v13, v12, v10 dst_sel:DWORD dst_unused:UNUSED_PAD src0_sel:DWORD src1_sel:WORD_1
	v_mul_f16_sdwa v14, v8, v10 dst_sel:DWORD dst_unused:UNUSED_PAD src0_sel:DWORD src1_sel:WORD_1
	v_fma_f16 v8, v8, v10, v13
	v_fma_f16 v10, v10, v12, -v14
	v_cvt_f32_f16_e32 v8, v8
	v_cvt_f32_f16_e32 v10, v10
	v_cvt_f64_f32_e32 v[12:13], v8
	v_cvt_f64_f32_e32 v[14:15], v10
	v_mul_f64 v[12:13], v[12:13], s[6:7]
	v_mul_f64 v[14:15], v[14:15], s[6:7]
	v_and_or_b32 v8, v13, s16, v12
	v_and_or_b32 v14, v15, s16, v14
	v_cmp_ne_u32_e32 vcc, 0, v8
	v_lshrrev_b32_e32 v10, 8, v13
	v_bfe_u32 v12, v13, 20, 11
	v_cndmask_b32_e64 v8, 0, 1, vcc
	v_cmp_ne_u32_e32 vcc, 0, v14
	v_lshrrev_b32_e32 v16, 8, v15
	v_bfe_u32 v17, v15, 20, 11
	v_sub_u32_e32 v18, 0x3f1, v12
	v_cndmask_b32_e64 v14, 0, 1, vcc
	v_and_or_b32 v8, v10, s15, v8
	v_sub_u32_e32 v19, 0x3f1, v17
	v_med3_i32 v10, v18, 0, 13
	v_and_or_b32 v14, v16, s15, v14
	v_or_b32_e32 v18, 0x1000, v8
	v_add_u32_e32 v12, 0xfffffc10, v12
	v_med3_i32 v16, v19, 0, 13
	v_cmp_ne_u32_e32 vcc, 0, v8
	v_or_b32_e32 v21, 0x1000, v14
	v_lshrrev_b32_e32 v24, v10, v18
	v_add_u32_e32 v17, 0xfffffc10, v17
	v_lshl_or_b32 v19, v12, 12, v8
	v_cndmask_b32_e64 v8, 0, 1, vcc
	v_cmp_ne_u32_e32 vcc, 0, v14
	v_lshrrev_b32_e32 v25, v16, v21
	v_lshlrev_b32_e32 v10, v10, v24
	v_lshl_or_b32 v23, v17, 12, v14
	v_cndmask_b32_e64 v14, 0, 1, vcc
	v_lshlrev_b32_e32 v16, v16, v25
	v_cmp_ne_u32_e32 vcc, v10, v18
	v_lshl_or_b32 v8, v8, 9, v2
	v_lshl_or_b32 v14, v14, 9, v2
	v_cndmask_b32_e64 v10, 0, 1, vcc
	v_cmp_ne_u32_e32 vcc, v16, v21
	v_or_b32_e32 v10, v24, v10
	v_and_b32_sdwa v13, v13, s14 dst_sel:DWORD dst_unused:UNUSED_PAD src0_sel:WORD_1 src1_sel:DWORD
	v_cndmask_b32_e64 v16, 0, 1, vcc
	v_cmp_gt_i32_e32 vcc, 1, v12
	v_or_b32_e32 v16, v25, v16
	v_lshrrev_b32_e32 v15, 16, v15
	v_cndmask_b32_e32 v10, v19, v10, vcc
	v_cmp_gt_i32_e32 vcc, 1, v17
	v_and_b32_e32 v18, 7, v10
	v_cmp_eq_u32_e64 s[0:1], 3, v18
	v_cndmask_b32_e32 v16, v23, v16, vcc
	v_cmp_lt_i32_e32 vcc, 5, v18
	v_lshrrev_b32_e32 v10, 2, v10
	v_and_b32_e32 v19, 7, v16
	s_or_b64 vcc, s[0:1], vcc
	v_cmp_lt_i32_e64 s[2:3], 5, v19
	v_cmp_eq_u32_e64 s[4:5], 3, v19
	v_addc_co_u32_e32 v10, vcc, 0, v10, vcc
	v_lshrrev_b32_e32 v16, 2, v16
	s_or_b64 vcc, s[4:5], s[2:3]
	v_addc_co_u32_e32 v16, vcc, 0, v16, vcc
	v_cmp_gt_i32_e32 vcc, 31, v12
	s_nop 1
	v_cndmask_b32_e32 v10, v2, v10, vcc
	v_cmp_gt_i32_e32 vcc, 31, v17
	s_nop 1
	v_cndmask_b32_e32 v16, v2, v16, vcc
	v_cmp_eq_u32_e32 vcc, s10, v12
	s_nop 1
	v_cndmask_b32_e32 v8, v10, v8, vcc
	v_cmp_eq_u32_e32 vcc, s10, v17
	v_bitop3_b32 v8, v13, s17, v8 bitop3:0xc8
	s_nop 0
	v_cndmask_b32_e32 v10, v16, v14, vcc
	v_and_or_b32 v10, v15, s14, v10
	v_lshl_or_b32 v8, v10, 16, v8
	global_store_dword v[6:7], v8, off
	global_load_dword v8, v22, s[12:13] offset:1152
	v_lshrrev_b32_e32 v10, 16, v9
	v_mad_u64_u32 v[6:7], s[0:1], s8, v3, v[6:7]
	v_add_u32_e32 v7, s11, v7
	s_waitcnt vmcnt(0)
	v_mul_f16_sdwa v12, v10, v8 dst_sel:DWORD dst_unused:UNUSED_PAD src0_sel:DWORD src1_sel:WORD_1
	v_mul_f16_sdwa v13, v9, v8 dst_sel:DWORD dst_unused:UNUSED_PAD src0_sel:DWORD src1_sel:WORD_1
	v_fma_f16 v9, v9, v8, v12
	v_fma_f16 v8, v8, v10, -v13
	v_cvt_f32_f16_e32 v9, v9
	v_cvt_f32_f16_e32 v10, v8
	v_cvt_f64_f32_e32 v[8:9], v9
	v_cvt_f64_f32_e32 v[12:13], v10
	v_mul_f64 v[8:9], v[8:9], s[6:7]
	v_mul_f64 v[12:13], v[12:13], s[6:7]
	v_and_or_b32 v8, v9, s16, v8
	v_and_or_b32 v12, v13, s16, v12
	v_cmp_ne_u32_e32 vcc, 0, v8
	v_lshrrev_b32_e32 v10, 8, v9
	v_bfe_u32 v14, v9, 20, 11
	v_cndmask_b32_e64 v8, 0, 1, vcc
	v_cmp_ne_u32_e32 vcc, 0, v12
	v_lshrrev_b32_e32 v15, 8, v13
	v_bfe_u32 v16, v13, 20, 11
	v_sub_u32_e32 v17, 0x3f1, v14
	v_cndmask_b32_e64 v12, 0, 1, vcc
	v_and_or_b32 v8, v10, s15, v8
	v_sub_u32_e32 v18, 0x3f1, v16
	v_med3_i32 v10, v17, 0, 13
	v_and_or_b32 v12, v15, s15, v12
	v_or_b32_e32 v17, 0x1000, v8
	v_add_u32_e32 v14, 0xfffffc10, v14
	v_med3_i32 v15, v18, 0, 13
	v_cmp_ne_u32_e32 vcc, 0, v8
	v_or_b32_e32 v19, 0x1000, v12
	v_lshrrev_b32_e32 v23, v10, v17
	v_add_u32_e32 v16, 0xfffffc10, v16
	v_lshl_or_b32 v18, v14, 12, v8
	v_cndmask_b32_e64 v8, 0, 1, vcc
	v_cmp_ne_u32_e32 vcc, 0, v12
	v_lshrrev_b32_e32 v24, v15, v19
	v_lshlrev_b32_e32 v10, v10, v23
	v_lshl_or_b32 v21, v16, 12, v12
	v_cndmask_b32_e64 v12, 0, 1, vcc
	v_lshlrev_b32_e32 v15, v15, v24
	v_cmp_ne_u32_e32 vcc, v10, v17
	v_lshl_or_b32 v8, v8, 9, v2
	v_lshl_or_b32 v12, v12, 9, v2
	v_cndmask_b32_e64 v10, 0, 1, vcc
	v_cmp_ne_u32_e32 vcc, v15, v19
	v_or_b32_e32 v10, v23, v10
	v_and_b32_sdwa v9, v9, s14 dst_sel:DWORD dst_unused:UNUSED_PAD src0_sel:WORD_1 src1_sel:DWORD
	v_cndmask_b32_e64 v15, 0, 1, vcc
	v_cmp_gt_i32_e32 vcc, 1, v14
	v_or_b32_e32 v15, v24, v15
	v_lshrrev_b32_e32 v13, 16, v13
	v_cndmask_b32_e32 v10, v18, v10, vcc
	v_cmp_gt_i32_e32 vcc, 1, v16
	v_and_b32_e32 v17, 7, v10
	v_cmp_eq_u32_e64 s[0:1], 3, v17
	v_cndmask_b32_e32 v15, v21, v15, vcc
	v_cmp_lt_i32_e32 vcc, 5, v17
	v_lshrrev_b32_e32 v10, 2, v10
	v_and_b32_e32 v18, 7, v15
	s_or_b64 vcc, s[0:1], vcc
	v_cmp_lt_i32_e64 s[2:3], 5, v18
	v_cmp_eq_u32_e64 s[4:5], 3, v18
	v_addc_co_u32_e32 v10, vcc, 0, v10, vcc
	v_lshrrev_b32_e32 v15, 2, v15
	s_or_b64 vcc, s[4:5], s[2:3]
	v_addc_co_u32_e32 v15, vcc, 0, v15, vcc
	v_cmp_gt_i32_e32 vcc, 31, v14
	s_nop 1
	v_cndmask_b32_e32 v10, v2, v10, vcc
	v_cmp_gt_i32_e32 vcc, 31, v16
	s_nop 1
	v_cndmask_b32_e32 v15, v2, v15, vcc
	v_cmp_eq_u32_e32 vcc, s10, v14
	s_nop 1
	v_cndmask_b32_e32 v8, v10, v8, vcc
	v_cmp_eq_u32_e32 vcc, s10, v16
	v_bitop3_b32 v8, v9, s17, v8 bitop3:0xc8
	s_nop 0
	v_cndmask_b32_e32 v10, v15, v12, vcc
	v_and_or_b32 v10, v13, s14, v10
	v_lshl_or_b32 v8, v10, 16, v8
	global_store_dword v[6:7], v8, off
	global_load_dword v10, v22, s[12:13] offset:1440
	v_add_u32_e32 v8, 0x400, v11
	ds_read2_b32 v[8:9], v8 offset0:104 offset1:176
	v_mad_u64_u32 v[6:7], s[0:1], s8, v3, v[6:7]
	v_add_u32_e32 v7, s11, v7
	s_waitcnt lgkmcnt(0)
	v_lshrrev_b32_e32 v12, 16, v8
	s_waitcnt vmcnt(0)
	v_mul_f16_sdwa v13, v12, v10 dst_sel:DWORD dst_unused:UNUSED_PAD src0_sel:DWORD src1_sel:WORD_1
	v_mul_f16_sdwa v14, v8, v10 dst_sel:DWORD dst_unused:UNUSED_PAD src0_sel:DWORD src1_sel:WORD_1
	v_fma_f16 v8, v8, v10, v13
	v_fma_f16 v10, v10, v12, -v14
	v_cvt_f32_f16_e32 v8, v8
	v_cvt_f32_f16_e32 v10, v10
	v_cvt_f64_f32_e32 v[12:13], v8
	v_cvt_f64_f32_e32 v[14:15], v10
	v_mul_f64 v[12:13], v[12:13], s[6:7]
	v_mul_f64 v[14:15], v[14:15], s[6:7]
	v_and_or_b32 v8, v13, s16, v12
	v_and_or_b32 v14, v15, s16, v14
	v_cmp_ne_u32_e32 vcc, 0, v8
	v_lshrrev_b32_e32 v10, 8, v13
	v_bfe_u32 v12, v13, 20, 11
	v_cndmask_b32_e64 v8, 0, 1, vcc
	v_cmp_ne_u32_e32 vcc, 0, v14
	v_lshrrev_b32_e32 v16, 8, v15
	v_bfe_u32 v17, v15, 20, 11
	v_sub_u32_e32 v18, 0x3f1, v12
	v_cndmask_b32_e64 v14, 0, 1, vcc
	v_and_or_b32 v8, v10, s15, v8
	v_sub_u32_e32 v19, 0x3f1, v17
	v_med3_i32 v10, v18, 0, 13
	v_and_or_b32 v14, v16, s15, v14
	v_or_b32_e32 v18, 0x1000, v8
	v_add_u32_e32 v12, 0xfffffc10, v12
	v_med3_i32 v16, v19, 0, 13
	v_cmp_ne_u32_e32 vcc, 0, v8
	v_or_b32_e32 v21, 0x1000, v14
	v_lshrrev_b32_e32 v24, v10, v18
	v_add_u32_e32 v17, 0xfffffc10, v17
	v_lshl_or_b32 v19, v12, 12, v8
	v_cndmask_b32_e64 v8, 0, 1, vcc
	v_cmp_ne_u32_e32 vcc, 0, v14
	v_lshrrev_b32_e32 v25, v16, v21
	v_lshlrev_b32_e32 v10, v10, v24
	v_lshl_or_b32 v23, v17, 12, v14
	v_cndmask_b32_e64 v14, 0, 1, vcc
	v_lshlrev_b32_e32 v16, v16, v25
	v_cmp_ne_u32_e32 vcc, v10, v18
	v_lshl_or_b32 v8, v8, 9, v2
	v_lshl_or_b32 v14, v14, 9, v2
	v_cndmask_b32_e64 v10, 0, 1, vcc
	v_cmp_ne_u32_e32 vcc, v16, v21
	v_or_b32_e32 v10, v24, v10
	v_and_b32_sdwa v13, v13, s14 dst_sel:DWORD dst_unused:UNUSED_PAD src0_sel:WORD_1 src1_sel:DWORD
	v_cndmask_b32_e64 v16, 0, 1, vcc
	v_cmp_gt_i32_e32 vcc, 1, v12
	v_or_b32_e32 v16, v25, v16
	v_lshrrev_b32_e32 v15, 16, v15
	v_cndmask_b32_e32 v10, v19, v10, vcc
	v_cmp_gt_i32_e32 vcc, 1, v17
	v_and_b32_e32 v18, 7, v10
	v_cmp_eq_u32_e64 s[0:1], 3, v18
	v_cndmask_b32_e32 v16, v23, v16, vcc
	v_cmp_lt_i32_e32 vcc, 5, v18
	v_lshrrev_b32_e32 v10, 2, v10
	v_and_b32_e32 v19, 7, v16
	s_or_b64 vcc, s[0:1], vcc
	v_cmp_lt_i32_e64 s[2:3], 5, v19
	v_cmp_eq_u32_e64 s[4:5], 3, v19
	v_addc_co_u32_e32 v10, vcc, 0, v10, vcc
	v_lshrrev_b32_e32 v16, 2, v16
	s_or_b64 vcc, s[4:5], s[2:3]
	v_addc_co_u32_e32 v16, vcc, 0, v16, vcc
	v_cmp_gt_i32_e32 vcc, 31, v12
	s_nop 1
	v_cndmask_b32_e32 v10, v2, v10, vcc
	v_cmp_gt_i32_e32 vcc, 31, v17
	s_nop 1
	v_cndmask_b32_e32 v16, v2, v16, vcc
	v_cmp_eq_u32_e32 vcc, s10, v12
	s_nop 1
	v_cndmask_b32_e32 v8, v10, v8, vcc
	v_cmp_eq_u32_e32 vcc, s10, v17
	v_bitop3_b32 v8, v13, s17, v8 bitop3:0xc8
	s_nop 0
	v_cndmask_b32_e32 v10, v16, v14, vcc
	v_and_or_b32 v10, v15, s14, v10
	v_lshl_or_b32 v8, v10, 16, v8
	global_store_dword v[6:7], v8, off
	global_load_dword v8, v22, s[12:13] offset:1728
	v_lshrrev_b32_e32 v10, 16, v9
	v_mad_u64_u32 v[6:7], s[0:1], s8, v3, v[6:7]
	v_add_u32_e32 v7, s11, v7
	s_waitcnt vmcnt(0)
	v_mul_f16_sdwa v12, v10, v8 dst_sel:DWORD dst_unused:UNUSED_PAD src0_sel:DWORD src1_sel:WORD_1
	v_mul_f16_sdwa v13, v9, v8 dst_sel:DWORD dst_unused:UNUSED_PAD src0_sel:DWORD src1_sel:WORD_1
	v_fma_f16 v9, v9, v8, v12
	v_fma_f16 v8, v8, v10, -v13
	v_cvt_f32_f16_e32 v9, v9
	v_cvt_f32_f16_e32 v10, v8
	v_cvt_f64_f32_e32 v[8:9], v9
	v_cvt_f64_f32_e32 v[12:13], v10
	v_mul_f64 v[8:9], v[8:9], s[6:7]
	v_mul_f64 v[12:13], v[12:13], s[6:7]
	v_and_or_b32 v8, v9, s16, v8
	v_and_or_b32 v12, v13, s16, v12
	v_cmp_ne_u32_e32 vcc, 0, v8
	v_lshrrev_b32_e32 v10, 8, v9
	v_bfe_u32 v14, v9, 20, 11
	v_cndmask_b32_e64 v8, 0, 1, vcc
	v_cmp_ne_u32_e32 vcc, 0, v12
	v_lshrrev_b32_e32 v15, 8, v13
	v_bfe_u32 v16, v13, 20, 11
	v_sub_u32_e32 v17, 0x3f1, v14
	v_cndmask_b32_e64 v12, 0, 1, vcc
	v_and_or_b32 v8, v10, s15, v8
	v_sub_u32_e32 v18, 0x3f1, v16
	v_med3_i32 v10, v17, 0, 13
	v_and_or_b32 v12, v15, s15, v12
	v_or_b32_e32 v17, 0x1000, v8
	v_add_u32_e32 v14, 0xfffffc10, v14
	v_med3_i32 v15, v18, 0, 13
	v_cmp_ne_u32_e32 vcc, 0, v8
	v_or_b32_e32 v19, 0x1000, v12
	v_lshrrev_b32_e32 v23, v10, v17
	v_add_u32_e32 v16, 0xfffffc10, v16
	v_lshl_or_b32 v18, v14, 12, v8
	v_cndmask_b32_e64 v8, 0, 1, vcc
	v_cmp_ne_u32_e32 vcc, 0, v12
	v_lshrrev_b32_e32 v24, v15, v19
	v_lshlrev_b32_e32 v10, v10, v23
	v_lshl_or_b32 v21, v16, 12, v12
	v_cndmask_b32_e64 v12, 0, 1, vcc
	v_lshlrev_b32_e32 v15, v15, v24
	v_cmp_ne_u32_e32 vcc, v10, v17
	v_lshl_or_b32 v8, v8, 9, v2
	v_lshl_or_b32 v12, v12, 9, v2
	v_cndmask_b32_e64 v10, 0, 1, vcc
	v_cmp_ne_u32_e32 vcc, v15, v19
	v_or_b32_e32 v10, v23, v10
	v_and_b32_sdwa v9, v9, s14 dst_sel:DWORD dst_unused:UNUSED_PAD src0_sel:WORD_1 src1_sel:DWORD
	v_cndmask_b32_e64 v15, 0, 1, vcc
	v_cmp_gt_i32_e32 vcc, 1, v14
	v_or_b32_e32 v15, v24, v15
	v_lshrrev_b32_e32 v13, 16, v13
	v_cndmask_b32_e32 v10, v18, v10, vcc
	v_cmp_gt_i32_e32 vcc, 1, v16
	v_and_b32_e32 v17, 7, v10
	v_cmp_eq_u32_e64 s[0:1], 3, v17
	v_cndmask_b32_e32 v15, v21, v15, vcc
	v_cmp_lt_i32_e32 vcc, 5, v17
	v_lshrrev_b32_e32 v10, 2, v10
	v_and_b32_e32 v18, 7, v15
	s_or_b64 vcc, s[0:1], vcc
	v_cmp_lt_i32_e64 s[2:3], 5, v18
	v_cmp_eq_u32_e64 s[4:5], 3, v18
	v_addc_co_u32_e32 v10, vcc, 0, v10, vcc
	v_lshrrev_b32_e32 v15, 2, v15
	s_or_b64 vcc, s[4:5], s[2:3]
	v_addc_co_u32_e32 v15, vcc, 0, v15, vcc
	v_cmp_gt_i32_e32 vcc, 31, v14
	s_nop 1
	v_cndmask_b32_e32 v10, v2, v10, vcc
	v_cmp_gt_i32_e32 vcc, 31, v16
	s_nop 1
	v_cndmask_b32_e32 v15, v2, v15, vcc
	v_cmp_eq_u32_e32 vcc, s10, v14
	s_nop 1
	v_cndmask_b32_e32 v8, v10, v8, vcc
	v_cmp_eq_u32_e32 vcc, s10, v16
	v_bitop3_b32 v8, v9, s17, v8 bitop3:0xc8
	s_nop 0
	v_cndmask_b32_e32 v10, v15, v12, vcc
	v_and_or_b32 v10, v13, s14, v10
	v_lshl_or_b32 v8, v10, 16, v8
	global_store_dword v[6:7], v8, off
	global_load_dword v10, v22, s[12:13] offset:2016
	ds_read2_b32 v[8:9], v5 offset0:120 offset1:192
	v_mad_u64_u32 v[6:7], s[0:1], s8, v3, v[6:7]
	v_add_u32_e32 v7, s11, v7
	s_waitcnt lgkmcnt(0)
	v_lshrrev_b32_e32 v5, 16, v8
	s_waitcnt vmcnt(0)
	v_mul_f16_sdwa v12, v5, v10 dst_sel:DWORD dst_unused:UNUSED_PAD src0_sel:DWORD src1_sel:WORD_1
	v_mul_f16_sdwa v13, v8, v10 dst_sel:DWORD dst_unused:UNUSED_PAD src0_sel:DWORD src1_sel:WORD_1
	v_fma_f16 v8, v8, v10, v12
	v_fma_f16 v5, v10, v5, -v13
	v_cvt_f32_f16_e32 v8, v8
	v_cvt_f32_f16_e32 v5, v5
	v_cvt_f64_f32_e32 v[12:13], v8
	v_cvt_f64_f32_e32 v[14:15], v5
	v_mul_f64 v[12:13], v[12:13], s[6:7]
	v_mul_f64 v[14:15], v[14:15], s[6:7]
	v_and_or_b32 v5, v13, s16, v12
	v_lshrrev_b32_e32 v8, 8, v13
	v_bfe_u32 v10, v13, 20, 11
	v_and_b32_sdwa v12, v13, s14 dst_sel:DWORD dst_unused:UNUSED_PAD src0_sel:WORD_1 src1_sel:DWORD
	v_and_or_b32 v13, v15, s16, v14
	v_cmp_ne_u32_e32 vcc, 0, v5
	v_lshrrev_b32_e32 v14, 8, v15
	v_bfe_u32 v16, v15, 20, 11
	v_cndmask_b32_e64 v5, 0, 1, vcc
	v_cmp_ne_u32_e32 vcc, 0, v13
	v_sub_u32_e32 v17, 0x3f1, v10
	v_and_or_b32 v5, v8, s15, v5
	v_cndmask_b32_e64 v13, 0, 1, vcc
	v_sub_u32_e32 v18, 0x3f1, v16
	v_med3_i32 v8, v17, 0, 13
	v_and_or_b32 v13, v14, s15, v13
	v_or_b32_e32 v17, 0x1000, v5
	v_add_u32_e32 v10, 0xfffffc10, v10
	v_med3_i32 v14, v18, 0, 13
	v_cmp_ne_u32_e32 vcc, 0, v5
	v_or_b32_e32 v19, 0x1000, v13
	v_lshrrev_b32_e32 v23, v8, v17
	v_add_u32_e32 v16, 0xfffffc10, v16
	v_lshl_or_b32 v18, v10, 12, v5
	v_cndmask_b32_e64 v5, 0, 1, vcc
	v_cmp_ne_u32_e32 vcc, 0, v13
	v_lshrrev_b32_e32 v24, v14, v19
	v_lshlrev_b32_e32 v8, v8, v23
	v_lshl_or_b32 v21, v16, 12, v13
	v_cndmask_b32_e64 v13, 0, 1, vcc
	v_lshlrev_b32_e32 v14, v14, v24
	v_cmp_ne_u32_e32 vcc, v8, v17
	v_lshl_or_b32 v5, v5, 9, v2
	v_lshl_or_b32 v13, v13, 9, v2
	v_cndmask_b32_e64 v8, 0, 1, vcc
	v_cmp_ne_u32_e32 vcc, v14, v19
	v_or_b32_e32 v8, v23, v8
	v_lshrrev_b32_e32 v15, 16, v15
	v_cndmask_b32_e64 v14, 0, 1, vcc
	v_cmp_gt_i32_e32 vcc, 1, v10
	v_or_b32_e32 v14, v24, v14
	s_nop 0
	v_cndmask_b32_e32 v8, v18, v8, vcc
	v_cmp_gt_i32_e32 vcc, 1, v16
	v_and_b32_e32 v17, 7, v8
	v_cmp_eq_u32_e64 s[0:1], 3, v17
	v_cndmask_b32_e32 v14, v21, v14, vcc
	v_cmp_lt_i32_e32 vcc, 5, v17
	v_lshrrev_b32_e32 v8, 2, v8
	v_and_b32_e32 v18, 7, v14
	s_or_b64 vcc, s[0:1], vcc
	v_cmp_lt_i32_e64 s[2:3], 5, v18
	v_cmp_eq_u32_e64 s[4:5], 3, v18
	v_addc_co_u32_e32 v8, vcc, 0, v8, vcc
	v_lshrrev_b32_e32 v14, 2, v14
	s_or_b64 vcc, s[4:5], s[2:3]
	v_addc_co_u32_e32 v14, vcc, 0, v14, vcc
	v_cmp_gt_i32_e32 vcc, 31, v10
	s_nop 1
	v_cndmask_b32_e32 v8, v2, v8, vcc
	v_cmp_gt_i32_e32 vcc, 31, v16
	s_nop 1
	v_cndmask_b32_e32 v14, v2, v14, vcc
	v_cmp_eq_u32_e32 vcc, s10, v10
	s_nop 1
	v_cndmask_b32_e32 v5, v8, v5, vcc
	v_cmp_eq_u32_e32 vcc, s10, v16
	v_bitop3_b32 v5, v12, s17, v5 bitop3:0xc8
	s_nop 0
	v_cndmask_b32_e32 v8, v14, v13, vcc
	v_and_or_b32 v8, v15, s14, v8
	v_lshl_or_b32 v5, v8, 16, v5
	global_store_dword v[6:7], v5, off
	global_load_dword v5, v22, s[12:13] offset:2304
	v_lshrrev_b32_e32 v8, 16, v9
	v_mad_u64_u32 v[6:7], s[0:1], s8, v3, v[6:7]
	v_add_u32_e32 v7, s11, v7
	s_waitcnt vmcnt(0)
	v_mul_f16_sdwa v10, v8, v5 dst_sel:DWORD dst_unused:UNUSED_PAD src0_sel:DWORD src1_sel:WORD_1
	v_mul_f16_sdwa v12, v9, v5 dst_sel:DWORD dst_unused:UNUSED_PAD src0_sel:DWORD src1_sel:WORD_1
	v_fma_f16 v9, v9, v5, v10
	v_fma_f16 v5, v5, v8, -v12
	v_cvt_f32_f16_e32 v8, v9
	v_cvt_f32_f16_e32 v5, v5
	v_cvt_f64_f32_e32 v[8:9], v8
	v_cvt_f64_f32_e32 v[12:13], v5
	v_mul_f64 v[8:9], v[8:9], s[6:7]
	v_mul_f64 v[12:13], v[12:13], s[6:7]
	v_and_or_b32 v5, v9, s16, v8
	v_and_or_b32 v12, v13, s16, v12
	v_cmp_ne_u32_e32 vcc, 0, v5
	v_lshrrev_b32_e32 v8, 8, v9
	v_bfe_u32 v10, v9, 20, 11
	v_cndmask_b32_e64 v5, 0, 1, vcc
	v_cmp_ne_u32_e32 vcc, 0, v12
	v_lshrrev_b32_e32 v14, 8, v13
	v_bfe_u32 v15, v13, 20, 11
	v_sub_u32_e32 v16, 0x3f1, v10
	v_cndmask_b32_e64 v12, 0, 1, vcc
	v_and_or_b32 v5, v8, s15, v5
	v_sub_u32_e32 v17, 0x3f1, v15
	v_med3_i32 v8, v16, 0, 13
	v_and_or_b32 v12, v14, s15, v12
	v_or_b32_e32 v16, 0x1000, v5
	v_add_u32_e32 v10, 0xfffffc10, v10
	v_med3_i32 v14, v17, 0, 13
	v_cmp_ne_u32_e32 vcc, 0, v5
	v_or_b32_e32 v18, 0x1000, v12
	v_lshrrev_b32_e32 v21, v8, v16
	v_add_u32_e32 v15, 0xfffffc10, v15
	v_lshl_or_b32 v17, v10, 12, v5
	v_cndmask_b32_e64 v5, 0, 1, vcc
	v_cmp_ne_u32_e32 vcc, 0, v12
	v_lshrrev_b32_e32 v23, v14, v18
	v_lshlrev_b32_e32 v8, v8, v21
	v_lshl_or_b32 v19, v15, 12, v12
	v_cndmask_b32_e64 v12, 0, 1, vcc
	v_lshlrev_b32_e32 v14, v14, v23
	v_cmp_ne_u32_e32 vcc, v8, v16
	v_lshl_or_b32 v5, v5, 9, v2
	v_lshl_or_b32 v12, v12, 9, v2
	v_cndmask_b32_e64 v8, 0, 1, vcc
	v_cmp_ne_u32_e32 vcc, v14, v18
	v_or_b32_e32 v8, v21, v8
	v_and_b32_sdwa v9, v9, s14 dst_sel:DWORD dst_unused:UNUSED_PAD src0_sel:WORD_1 src1_sel:DWORD
	v_cndmask_b32_e64 v14, 0, 1, vcc
	v_cmp_gt_i32_e32 vcc, 1, v10
	v_or_b32_e32 v14, v23, v14
	v_lshrrev_b32_e32 v13, 16, v13
	v_cndmask_b32_e32 v8, v17, v8, vcc
	v_cmp_gt_i32_e32 vcc, 1, v15
	v_and_b32_e32 v16, 7, v8
	v_cmp_eq_u32_e64 s[0:1], 3, v16
	v_cndmask_b32_e32 v14, v19, v14, vcc
	v_cmp_lt_i32_e32 vcc, 5, v16
	v_lshrrev_b32_e32 v8, 2, v8
	v_and_b32_e32 v17, 7, v14
	s_or_b64 vcc, s[0:1], vcc
	v_cmp_lt_i32_e64 s[2:3], 5, v17
	v_cmp_eq_u32_e64 s[4:5], 3, v17
	v_addc_co_u32_e32 v8, vcc, 0, v8, vcc
	v_lshrrev_b32_e32 v14, 2, v14
	s_or_b64 vcc, s[4:5], s[2:3]
	v_addc_co_u32_e32 v14, vcc, 0, v14, vcc
	v_cmp_gt_i32_e32 vcc, 31, v10
	s_nop 1
	v_cndmask_b32_e32 v8, v2, v8, vcc
	v_cmp_gt_i32_e32 vcc, 31, v15
	s_nop 1
	v_cndmask_b32_e32 v14, v2, v14, vcc
	v_cmp_eq_u32_e32 vcc, s10, v10
	s_nop 1
	v_cndmask_b32_e32 v5, v8, v5, vcc
	v_cmp_eq_u32_e32 vcc, s10, v15
	v_bitop3_b32 v5, v9, s17, v5 bitop3:0xc8
	s_nop 0
	v_cndmask_b32_e32 v8, v14, v12, vcc
	v_and_or_b32 v8, v13, s14, v8
	v_lshl_or_b32 v5, v8, 16, v5
	global_store_dword v[6:7], v5, off
	global_load_dword v5, v22, s[12:13] offset:2592
	v_add_u32_e32 v8, 0x800, v11
	ds_read2_b32 v[8:9], v8 offset0:136 offset1:208
	v_mad_u64_u32 v[6:7], s[0:1], s8, v3, v[6:7]
	v_add_u32_e32 v7, s11, v7
	s_waitcnt lgkmcnt(0)
	v_lshrrev_b32_e32 v10, 16, v8
	s_waitcnt vmcnt(0)
	v_mul_f16_sdwa v12, v10, v5 dst_sel:DWORD dst_unused:UNUSED_PAD src0_sel:DWORD src1_sel:WORD_1
	v_mul_f16_sdwa v13, v8, v5 dst_sel:DWORD dst_unused:UNUSED_PAD src0_sel:DWORD src1_sel:WORD_1
	v_fma_f16 v8, v8, v5, v12
	v_fma_f16 v5, v5, v10, -v13
	v_cvt_f32_f16_e32 v8, v8
	v_cvt_f32_f16_e32 v5, v5
	v_cvt_f64_f32_e32 v[12:13], v8
	v_cvt_f64_f32_e32 v[14:15], v5
	v_mul_f64 v[12:13], v[12:13], s[6:7]
	v_mul_f64 v[14:15], v[14:15], s[6:7]
	v_and_or_b32 v5, v13, s16, v12
	v_lshrrev_b32_e32 v8, 8, v13
	v_bfe_u32 v10, v13, 20, 11
	v_and_b32_sdwa v12, v13, s14 dst_sel:DWORD dst_unused:UNUSED_PAD src0_sel:WORD_1 src1_sel:DWORD
	v_and_or_b32 v13, v15, s16, v14
	v_cmp_ne_u32_e32 vcc, 0, v5
	v_lshrrev_b32_e32 v14, 8, v15
	v_bfe_u32 v16, v15, 20, 11
	v_cndmask_b32_e64 v5, 0, 1, vcc
	v_cmp_ne_u32_e32 vcc, 0, v13
	v_sub_u32_e32 v17, 0x3f1, v10
	v_and_or_b32 v5, v8, s15, v5
	v_cndmask_b32_e64 v13, 0, 1, vcc
	v_sub_u32_e32 v18, 0x3f1, v16
	v_med3_i32 v8, v17, 0, 13
	v_and_or_b32 v13, v14, s15, v13
	v_or_b32_e32 v17, 0x1000, v5
	v_add_u32_e32 v10, 0xfffffc10, v10
	v_med3_i32 v14, v18, 0, 13
	v_cmp_ne_u32_e32 vcc, 0, v5
	v_or_b32_e32 v19, 0x1000, v13
	v_lshrrev_b32_e32 v23, v8, v17
	v_add_u32_e32 v16, 0xfffffc10, v16
	v_lshl_or_b32 v18, v10, 12, v5
	v_cndmask_b32_e64 v5, 0, 1, vcc
	v_cmp_ne_u32_e32 vcc, 0, v13
	v_lshrrev_b32_e32 v24, v14, v19
	v_lshlrev_b32_e32 v8, v8, v23
	v_lshl_or_b32 v21, v16, 12, v13
	v_cndmask_b32_e64 v13, 0, 1, vcc
	v_lshlrev_b32_e32 v14, v14, v24
	v_cmp_ne_u32_e32 vcc, v8, v17
	v_lshl_or_b32 v5, v5, 9, v2
	v_lshl_or_b32 v13, v13, 9, v2
	v_cndmask_b32_e64 v8, 0, 1, vcc
	v_cmp_ne_u32_e32 vcc, v14, v19
	v_or_b32_e32 v8, v23, v8
	v_lshrrev_b32_e32 v15, 16, v15
	v_cndmask_b32_e64 v14, 0, 1, vcc
	v_cmp_gt_i32_e32 vcc, 1, v10
	v_or_b32_e32 v14, v24, v14
	s_nop 0
	v_cndmask_b32_e32 v8, v18, v8, vcc
	v_cmp_gt_i32_e32 vcc, 1, v16
	v_and_b32_e32 v17, 7, v8
	v_cmp_eq_u32_e64 s[0:1], 3, v17
	v_cndmask_b32_e32 v14, v21, v14, vcc
	v_cmp_lt_i32_e32 vcc, 5, v17
	v_lshrrev_b32_e32 v8, 2, v8
	v_and_b32_e32 v18, 7, v14
	s_or_b64 vcc, s[0:1], vcc
	v_cmp_lt_i32_e64 s[2:3], 5, v18
	v_cmp_eq_u32_e64 s[4:5], 3, v18
	v_addc_co_u32_e32 v8, vcc, 0, v8, vcc
	v_lshrrev_b32_e32 v14, 2, v14
	s_or_b64 vcc, s[4:5], s[2:3]
	v_addc_co_u32_e32 v14, vcc, 0, v14, vcc
	v_cmp_gt_i32_e32 vcc, 31, v10
	s_nop 1
	v_cndmask_b32_e32 v8, v2, v8, vcc
	v_cmp_gt_i32_e32 vcc, 31, v16
	s_nop 1
	v_cndmask_b32_e32 v14, v2, v14, vcc
	v_cmp_eq_u32_e32 vcc, s10, v10
	s_nop 1
	v_cndmask_b32_e32 v5, v8, v5, vcc
	v_cmp_eq_u32_e32 vcc, s10, v16
	v_bitop3_b32 v5, v12, s17, v5 bitop3:0xc8
	s_nop 0
	v_cndmask_b32_e32 v8, v14, v13, vcc
	v_and_or_b32 v8, v15, s14, v8
	v_lshl_or_b32 v5, v8, 16, v5
	global_store_dword v[6:7], v5, off
	global_load_dword v5, v22, s[12:13] offset:2880
	v_lshrrev_b32_e32 v8, 16, v9
	v_mad_u64_u32 v[6:7], s[0:1], s8, v3, v[6:7]
	v_add_u32_e32 v7, s11, v7
	s_waitcnt vmcnt(0)
	v_mul_f16_sdwa v10, v8, v5 dst_sel:DWORD dst_unused:UNUSED_PAD src0_sel:DWORD src1_sel:WORD_1
	v_mul_f16_sdwa v12, v9, v5 dst_sel:DWORD dst_unused:UNUSED_PAD src0_sel:DWORD src1_sel:WORD_1
	v_fma_f16 v9, v9, v5, v10
	v_fma_f16 v5, v5, v8, -v12
	v_cvt_f32_f16_e32 v8, v9
	v_cvt_f32_f16_e32 v5, v5
	v_cvt_f64_f32_e32 v[8:9], v8
	v_cvt_f64_f32_e32 v[12:13], v5
	v_mul_f64 v[8:9], v[8:9], s[6:7]
	v_mul_f64 v[12:13], v[12:13], s[6:7]
	v_and_or_b32 v5, v9, s16, v8
	v_and_or_b32 v12, v13, s16, v12
	v_cmp_ne_u32_e32 vcc, 0, v5
	v_lshrrev_b32_e32 v8, 8, v9
	v_bfe_u32 v10, v9, 20, 11
	v_cndmask_b32_e64 v5, 0, 1, vcc
	v_cmp_ne_u32_e32 vcc, 0, v12
	v_lshrrev_b32_e32 v14, 8, v13
	v_bfe_u32 v15, v13, 20, 11
	v_sub_u32_e32 v16, 0x3f1, v10
	v_cndmask_b32_e64 v12, 0, 1, vcc
	v_and_or_b32 v5, v8, s15, v5
	v_sub_u32_e32 v17, 0x3f1, v15
	v_med3_i32 v8, v16, 0, 13
	v_and_or_b32 v12, v14, s15, v12
	v_or_b32_e32 v16, 0x1000, v5
	v_add_u32_e32 v10, 0xfffffc10, v10
	v_med3_i32 v14, v17, 0, 13
	v_cmp_ne_u32_e32 vcc, 0, v5
	v_or_b32_e32 v18, 0x1000, v12
	v_lshrrev_b32_e32 v21, v8, v16
	v_add_u32_e32 v15, 0xfffffc10, v15
	v_lshl_or_b32 v17, v10, 12, v5
	v_cndmask_b32_e64 v5, 0, 1, vcc
	v_cmp_ne_u32_e32 vcc, 0, v12
	v_lshrrev_b32_e32 v23, v14, v18
	v_lshlrev_b32_e32 v8, v8, v21
	v_lshl_or_b32 v19, v15, 12, v12
	v_cndmask_b32_e64 v12, 0, 1, vcc
	v_lshlrev_b32_e32 v14, v14, v23
	v_cmp_ne_u32_e32 vcc, v8, v16
	v_lshl_or_b32 v5, v5, 9, v2
	v_lshl_or_b32 v12, v12, 9, v2
	v_cndmask_b32_e64 v8, 0, 1, vcc
	v_cmp_ne_u32_e32 vcc, v14, v18
	v_or_b32_e32 v8, v21, v8
	v_and_b32_sdwa v9, v9, s14 dst_sel:DWORD dst_unused:UNUSED_PAD src0_sel:WORD_1 src1_sel:DWORD
	v_cndmask_b32_e64 v14, 0, 1, vcc
	v_cmp_gt_i32_e32 vcc, 1, v10
	v_or_b32_e32 v14, v23, v14
	v_lshrrev_b32_e32 v13, 16, v13
	v_cndmask_b32_e32 v8, v17, v8, vcc
	v_cmp_gt_i32_e32 vcc, 1, v15
	v_and_b32_e32 v16, 7, v8
	v_cmp_eq_u32_e64 s[0:1], 3, v16
	v_cndmask_b32_e32 v14, v19, v14, vcc
	v_cmp_lt_i32_e32 vcc, 5, v16
	v_lshrrev_b32_e32 v8, 2, v8
	v_and_b32_e32 v17, 7, v14
	s_or_b64 vcc, s[0:1], vcc
	v_cmp_lt_i32_e64 s[2:3], 5, v17
	v_cmp_eq_u32_e64 s[4:5], 3, v17
	v_addc_co_u32_e32 v8, vcc, 0, v8, vcc
	v_lshrrev_b32_e32 v14, 2, v14
	s_or_b64 vcc, s[4:5], s[2:3]
	v_addc_co_u32_e32 v14, vcc, 0, v14, vcc
	v_cmp_gt_i32_e32 vcc, 31, v10
	s_nop 1
	v_cndmask_b32_e32 v8, v2, v8, vcc
	v_cmp_gt_i32_e32 vcc, 31, v15
	s_nop 1
	v_cndmask_b32_e32 v14, v2, v14, vcc
	v_cmp_eq_u32_e32 vcc, s10, v10
	s_nop 1
	v_cndmask_b32_e32 v5, v8, v5, vcc
	v_cmp_eq_u32_e32 vcc, s10, v15
	v_bitop3_b32 v5, v9, s17, v5 bitop3:0xc8
	s_nop 0
	v_cndmask_b32_e32 v8, v14, v12, vcc
	v_and_or_b32 v8, v13, s14, v8
	v_lshl_or_b32 v5, v8, 16, v5
	global_store_dword v[6:7], v5, off
	global_load_dword v5, v22, s[12:13] offset:3168
	ds_read2_b32 v[8:9], v4 offset0:24 offset1:96
	v_mad_u64_u32 v[6:7], s[0:1], s8, v3, v[6:7]
	v_add_u32_e32 v7, s11, v7
	s_waitcnt lgkmcnt(0)
	v_lshrrev_b32_e32 v10, 16, v8
	s_waitcnt vmcnt(0)
	v_mul_f16_sdwa v12, v10, v5 dst_sel:DWORD dst_unused:UNUSED_PAD src0_sel:DWORD src1_sel:WORD_1
	v_mul_f16_sdwa v13, v8, v5 dst_sel:DWORD dst_unused:UNUSED_PAD src0_sel:DWORD src1_sel:WORD_1
	v_fma_f16 v8, v8, v5, v12
	v_fma_f16 v5, v5, v10, -v13
	v_cvt_f32_f16_e32 v8, v8
	v_cvt_f32_f16_e32 v5, v5
	v_cvt_f64_f32_e32 v[12:13], v8
	v_cvt_f64_f32_e32 v[14:15], v5
	v_mul_f64 v[12:13], v[12:13], s[6:7]
	v_mul_f64 v[14:15], v[14:15], s[6:7]
	v_and_or_b32 v5, v13, s16, v12
	v_lshrrev_b32_e32 v8, 8, v13
	v_bfe_u32 v10, v13, 20, 11
	v_and_b32_sdwa v12, v13, s14 dst_sel:DWORD dst_unused:UNUSED_PAD src0_sel:WORD_1 src1_sel:DWORD
	v_and_or_b32 v13, v15, s16, v14
	v_cmp_ne_u32_e32 vcc, 0, v5
	v_lshrrev_b32_e32 v14, 8, v15
	v_bfe_u32 v16, v15, 20, 11
	v_cndmask_b32_e64 v5, 0, 1, vcc
	v_cmp_ne_u32_e32 vcc, 0, v13
	v_sub_u32_e32 v17, 0x3f1, v10
	v_and_or_b32 v5, v8, s15, v5
	v_cndmask_b32_e64 v13, 0, 1, vcc
	v_sub_u32_e32 v18, 0x3f1, v16
	v_med3_i32 v8, v17, 0, 13
	v_and_or_b32 v13, v14, s15, v13
	v_or_b32_e32 v17, 0x1000, v5
	v_add_u32_e32 v10, 0xfffffc10, v10
	v_med3_i32 v14, v18, 0, 13
	v_cmp_ne_u32_e32 vcc, 0, v5
	v_or_b32_e32 v19, 0x1000, v13
	v_lshrrev_b32_e32 v23, v8, v17
	v_add_u32_e32 v16, 0xfffffc10, v16
	v_lshl_or_b32 v18, v10, 12, v5
	v_cndmask_b32_e64 v5, 0, 1, vcc
	v_cmp_ne_u32_e32 vcc, 0, v13
	v_lshrrev_b32_e32 v24, v14, v19
	v_lshlrev_b32_e32 v8, v8, v23
	v_lshl_or_b32 v21, v16, 12, v13
	v_cndmask_b32_e64 v13, 0, 1, vcc
	v_lshlrev_b32_e32 v14, v14, v24
	v_cmp_ne_u32_e32 vcc, v8, v17
	v_lshl_or_b32 v5, v5, 9, v2
	v_lshl_or_b32 v13, v13, 9, v2
	v_cndmask_b32_e64 v8, 0, 1, vcc
	v_cmp_ne_u32_e32 vcc, v14, v19
	v_or_b32_e32 v8, v23, v8
	v_lshrrev_b32_e32 v15, 16, v15
	v_cndmask_b32_e64 v14, 0, 1, vcc
	v_cmp_gt_i32_e32 vcc, 1, v10
	v_or_b32_e32 v14, v24, v14
	s_nop 0
	v_cndmask_b32_e32 v8, v18, v8, vcc
	v_cmp_gt_i32_e32 vcc, 1, v16
	v_and_b32_e32 v17, 7, v8
	v_cmp_eq_u32_e64 s[0:1], 3, v17
	v_cndmask_b32_e32 v14, v21, v14, vcc
	v_cmp_lt_i32_e32 vcc, 5, v17
	v_lshrrev_b32_e32 v8, 2, v8
	v_and_b32_e32 v18, 7, v14
	s_or_b64 vcc, s[0:1], vcc
	v_cmp_lt_i32_e64 s[2:3], 5, v18
	v_cmp_eq_u32_e64 s[4:5], 3, v18
	v_addc_co_u32_e32 v8, vcc, 0, v8, vcc
	v_lshrrev_b32_e32 v14, 2, v14
	s_or_b64 vcc, s[4:5], s[2:3]
	v_addc_co_u32_e32 v14, vcc, 0, v14, vcc
	v_cmp_gt_i32_e32 vcc, 31, v10
	s_nop 1
	v_cndmask_b32_e32 v8, v2, v8, vcc
	v_cmp_gt_i32_e32 vcc, 31, v16
	s_nop 1
	v_cndmask_b32_e32 v14, v2, v14, vcc
	v_cmp_eq_u32_e32 vcc, s10, v10
	s_nop 1
	v_cndmask_b32_e32 v5, v8, v5, vcc
	v_cmp_eq_u32_e32 vcc, s10, v16
	v_bitop3_b32 v5, v12, s17, v5 bitop3:0xc8
	s_nop 0
	v_cndmask_b32_e32 v8, v14, v13, vcc
	v_and_or_b32 v8, v15, s14, v8
	v_lshl_or_b32 v5, v8, 16, v5
	global_store_dword v[6:7], v5, off
	global_load_dword v5, v22, s[12:13] offset:3456
	v_lshrrev_b32_e32 v8, 16, v9
	v_mad_u64_u32 v[6:7], s[0:1], s8, v3, v[6:7]
	v_add_u32_e32 v7, s11, v7
	s_waitcnt vmcnt(0)
	v_mul_f16_sdwa v10, v8, v5 dst_sel:DWORD dst_unused:UNUSED_PAD src0_sel:DWORD src1_sel:WORD_1
	v_mul_f16_sdwa v12, v9, v5 dst_sel:DWORD dst_unused:UNUSED_PAD src0_sel:DWORD src1_sel:WORD_1
	v_fma_f16 v9, v9, v5, v10
	v_fma_f16 v5, v5, v8, -v12
	v_cvt_f32_f16_e32 v8, v9
	v_cvt_f32_f16_e32 v5, v5
	v_cvt_f64_f32_e32 v[8:9], v8
	v_cvt_f64_f32_e32 v[12:13], v5
	v_mul_f64 v[8:9], v[8:9], s[6:7]
	v_mul_f64 v[12:13], v[12:13], s[6:7]
	v_and_or_b32 v5, v9, s16, v8
	v_and_or_b32 v12, v13, s16, v12
	v_cmp_ne_u32_e32 vcc, 0, v5
	v_lshrrev_b32_e32 v8, 8, v9
	v_bfe_u32 v10, v9, 20, 11
	v_cndmask_b32_e64 v5, 0, 1, vcc
	v_cmp_ne_u32_e32 vcc, 0, v12
	v_lshrrev_b32_e32 v14, 8, v13
	v_bfe_u32 v15, v13, 20, 11
	v_sub_u32_e32 v16, 0x3f1, v10
	v_cndmask_b32_e64 v12, 0, 1, vcc
	v_and_or_b32 v5, v8, s15, v5
	v_sub_u32_e32 v17, 0x3f1, v15
	v_med3_i32 v8, v16, 0, 13
	v_and_or_b32 v12, v14, s15, v12
	v_or_b32_e32 v16, 0x1000, v5
	v_add_u32_e32 v10, 0xfffffc10, v10
	v_med3_i32 v14, v17, 0, 13
	v_cmp_ne_u32_e32 vcc, 0, v5
	v_or_b32_e32 v18, 0x1000, v12
	v_lshrrev_b32_e32 v21, v8, v16
	v_add_u32_e32 v15, 0xfffffc10, v15
	v_lshl_or_b32 v17, v10, 12, v5
	v_cndmask_b32_e64 v5, 0, 1, vcc
	v_cmp_ne_u32_e32 vcc, 0, v12
	v_lshrrev_b32_e32 v23, v14, v18
	v_lshlrev_b32_e32 v8, v8, v21
	v_lshl_or_b32 v19, v15, 12, v12
	v_cndmask_b32_e64 v12, 0, 1, vcc
	v_lshlrev_b32_e32 v14, v14, v23
	v_cmp_ne_u32_e32 vcc, v8, v16
	v_lshl_or_b32 v5, v5, 9, v2
	v_lshl_or_b32 v12, v12, 9, v2
	v_cndmask_b32_e64 v8, 0, 1, vcc
	v_cmp_ne_u32_e32 vcc, v14, v18
	v_or_b32_e32 v8, v21, v8
	v_and_b32_sdwa v9, v9, s14 dst_sel:DWORD dst_unused:UNUSED_PAD src0_sel:WORD_1 src1_sel:DWORD
	v_cndmask_b32_e64 v14, 0, 1, vcc
	v_cmp_gt_i32_e32 vcc, 1, v10
	v_or_b32_e32 v14, v23, v14
	v_lshrrev_b32_e32 v13, 16, v13
	v_cndmask_b32_e32 v8, v17, v8, vcc
	v_cmp_gt_i32_e32 vcc, 1, v15
	v_and_b32_e32 v16, 7, v8
	v_cmp_eq_u32_e64 s[0:1], 3, v16
	v_cndmask_b32_e32 v14, v19, v14, vcc
	v_cmp_lt_i32_e32 vcc, 5, v16
	v_lshrrev_b32_e32 v8, 2, v8
	v_and_b32_e32 v17, 7, v14
	s_or_b64 vcc, s[0:1], vcc
	v_cmp_lt_i32_e64 s[2:3], 5, v17
	v_cmp_eq_u32_e64 s[4:5], 3, v17
	v_addc_co_u32_e32 v8, vcc, 0, v8, vcc
	v_lshrrev_b32_e32 v14, 2, v14
	s_or_b64 vcc, s[4:5], s[2:3]
	v_addc_co_u32_e32 v14, vcc, 0, v14, vcc
	v_cmp_gt_i32_e32 vcc, 31, v10
	s_nop 1
	v_cndmask_b32_e32 v8, v2, v8, vcc
	v_cmp_gt_i32_e32 vcc, 31, v15
	s_nop 1
	v_cndmask_b32_e32 v14, v2, v14, vcc
	v_cmp_eq_u32_e32 vcc, s10, v10
	s_nop 1
	v_cndmask_b32_e32 v5, v8, v5, vcc
	v_cmp_eq_u32_e32 vcc, s10, v15
	v_bitop3_b32 v5, v9, s17, v5 bitop3:0xc8
	s_nop 0
	v_cndmask_b32_e32 v8, v14, v12, vcc
	v_and_or_b32 v8, v13, s14, v8
	v_lshl_or_b32 v5, v8, 16, v5
	global_store_dword v[6:7], v5, off
	global_load_dword v8, v22, s[12:13] offset:3744
	ds_read2_b32 v[4:5], v4 offset0:168 offset1:240
	v_mad_u64_u32 v[6:7], s[0:1], s8, v3, v[6:7]
	v_add_u32_e32 v7, s11, v7
	s_waitcnt lgkmcnt(0)
	v_lshrrev_b32_e32 v9, 16, v4
	s_waitcnt vmcnt(0)
	v_mul_f16_sdwa v10, v9, v8 dst_sel:DWORD dst_unused:UNUSED_PAD src0_sel:DWORD src1_sel:WORD_1
	v_mul_f16_sdwa v12, v4, v8 dst_sel:DWORD dst_unused:UNUSED_PAD src0_sel:DWORD src1_sel:WORD_1
	v_fma_f16 v4, v4, v8, v10
	v_fma_f16 v8, v8, v9, -v12
	v_cvt_f32_f16_e32 v4, v4
	v_cvt_f32_f16_e32 v10, v8
	v_cvt_f64_f32_e32 v[8:9], v4
	v_cvt_f64_f32_e32 v[12:13], v10
	v_mul_f64 v[8:9], v[8:9], s[6:7]
	v_mul_f64 v[12:13], v[12:13], s[6:7]
	v_and_or_b32 v4, v9, s16, v8
	v_and_or_b32 v12, v13, s16, v12
	v_cmp_ne_u32_e32 vcc, 0, v4
	v_lshrrev_b32_e32 v8, 8, v9
	v_bfe_u32 v10, v9, 20, 11
	v_cndmask_b32_e64 v4, 0, 1, vcc
	v_cmp_ne_u32_e32 vcc, 0, v12
	v_lshrrev_b32_e32 v14, 8, v13
	v_bfe_u32 v15, v13, 20, 11
	v_sub_u32_e32 v16, 0x3f1, v10
	v_cndmask_b32_e64 v12, 0, 1, vcc
	v_and_or_b32 v4, v8, s15, v4
	v_sub_u32_e32 v17, 0x3f1, v15
	v_med3_i32 v8, v16, 0, 13
	v_and_or_b32 v12, v14, s15, v12
	v_or_b32_e32 v16, 0x1000, v4
	v_add_u32_e32 v10, 0xfffffc10, v10
	v_med3_i32 v14, v17, 0, 13
	v_cmp_ne_u32_e32 vcc, 0, v4
	v_or_b32_e32 v18, 0x1000, v12
	v_lshrrev_b32_e32 v21, v8, v16
	v_add_u32_e32 v15, 0xfffffc10, v15
	v_lshl_or_b32 v17, v10, 12, v4
	v_cndmask_b32_e64 v4, 0, 1, vcc
	v_cmp_ne_u32_e32 vcc, 0, v12
	v_lshrrev_b32_e32 v23, v14, v18
	v_lshlrev_b32_e32 v8, v8, v21
	v_lshl_or_b32 v19, v15, 12, v12
	v_cndmask_b32_e64 v12, 0, 1, vcc
	v_lshlrev_b32_e32 v14, v14, v23
	v_cmp_ne_u32_e32 vcc, v8, v16
	v_lshl_or_b32 v4, v4, 9, v2
	v_lshl_or_b32 v12, v12, 9, v2
	v_cndmask_b32_e64 v8, 0, 1, vcc
	v_cmp_ne_u32_e32 vcc, v14, v18
	v_or_b32_e32 v8, v21, v8
	v_and_b32_sdwa v9, v9, s14 dst_sel:DWORD dst_unused:UNUSED_PAD src0_sel:WORD_1 src1_sel:DWORD
	v_cndmask_b32_e64 v14, 0, 1, vcc
	v_cmp_gt_i32_e32 vcc, 1, v10
	v_or_b32_e32 v14, v23, v14
	v_lshrrev_b32_e32 v13, 16, v13
	v_cndmask_b32_e32 v8, v17, v8, vcc
	v_cmp_gt_i32_e32 vcc, 1, v15
	v_and_b32_e32 v16, 7, v8
	v_cmp_eq_u32_e64 s[0:1], 3, v16
	v_cndmask_b32_e32 v14, v19, v14, vcc
	v_cmp_lt_i32_e32 vcc, 5, v16
	v_lshrrev_b32_e32 v8, 2, v8
	v_and_b32_e32 v17, 7, v14
	s_or_b64 vcc, s[0:1], vcc
	v_cmp_lt_i32_e64 s[2:3], 5, v17
	v_cmp_eq_u32_e64 s[4:5], 3, v17
	v_addc_co_u32_e32 v8, vcc, 0, v8, vcc
	v_lshrrev_b32_e32 v14, 2, v14
	s_or_b64 vcc, s[4:5], s[2:3]
	v_addc_co_u32_e32 v14, vcc, 0, v14, vcc
	v_cmp_gt_i32_e32 vcc, 31, v10
	v_mov_b32_e32 v23, 0
	s_movk_i32 s0, 0x1000
	v_cndmask_b32_e32 v8, v2, v8, vcc
	v_cmp_gt_i32_e32 vcc, 31, v15
	s_nop 1
	v_cndmask_b32_e32 v14, v2, v14, vcc
	v_cmp_eq_u32_e32 vcc, s10, v10
	v_lshrrev_b32_e32 v10, 16, v5
	s_nop 0
	v_cndmask_b32_e32 v4, v8, v4, vcc
	v_cmp_eq_u32_e32 vcc, s10, v15
	v_bitop3_b32 v4, v9, s17, v4 bitop3:0xc8
	s_nop 0
	v_cndmask_b32_e32 v8, v14, v12, vcc
	v_and_or_b32 v8, v13, s14, v8
	v_lshl_or_b32 v4, v8, 16, v4
	global_store_dword v[6:7], v4, off
	global_load_dword v4, v22, s[12:13] offset:4032
	v_lshl_add_u64 v[8:9], s[12:13], 0, v[22:23]
	v_add_co_u32_e32 v8, vcc, s0, v8
	s_waitcnt vmcnt(0)
	v_mul_f16_sdwa v12, v10, v4 dst_sel:DWORD dst_unused:UNUSED_PAD src0_sel:DWORD src1_sel:WORD_1
	v_mul_f16_sdwa v13, v5, v4 dst_sel:DWORD dst_unused:UNUSED_PAD src0_sel:DWORD src1_sel:WORD_1
	v_fma_f16 v5, v5, v4, v12
	v_fma_f16 v4, v4, v10, -v13
	v_cvt_f32_f16_e32 v10, v5
	v_cvt_f32_f16_e32 v12, v4
	v_mad_u64_u32 v[4:5], s[0:1], s8, v3, v[6:7]
	v_cvt_f64_f32_e32 v[6:7], v10
	v_cvt_f64_f32_e32 v[12:13], v12
	v_mul_f64 v[6:7], v[6:7], s[6:7]
	v_addc_co_u32_e32 v9, vcc, 0, v9, vcc
	v_mul_f64 v[12:13], v[12:13], s[6:7]
	v_and_or_b32 v6, v7, s16, v6
	v_and_or_b32 v12, v13, s16, v12
	v_cmp_ne_u32_e32 vcc, 0, v6
	v_lshrrev_b32_e32 v10, 8, v7
	v_bfe_u32 v14, v7, 20, 11
	v_cndmask_b32_e64 v6, 0, 1, vcc
	v_cmp_ne_u32_e32 vcc, 0, v12
	v_lshrrev_b32_e32 v15, 8, v13
	v_bfe_u32 v16, v13, 20, 11
	v_sub_u32_e32 v17, 0x3f1, v14
	v_cndmask_b32_e64 v12, 0, 1, vcc
	v_and_or_b32 v6, v10, s15, v6
	v_sub_u32_e32 v18, 0x3f1, v16
	v_med3_i32 v10, v17, 0, 13
	v_and_or_b32 v12, v15, s15, v12
	v_or_b32_e32 v17, 0x1000, v6
	v_add_u32_e32 v14, 0xfffffc10, v14
	v_med3_i32 v15, v18, 0, 13
	v_cmp_ne_u32_e32 vcc, 0, v6
	v_or_b32_e32 v19, 0x1000, v12
	v_lshrrev_b32_e32 v22, v10, v17
	v_add_u32_e32 v16, 0xfffffc10, v16
	v_lshl_or_b32 v18, v14, 12, v6
	v_cndmask_b32_e64 v6, 0, 1, vcc
	v_cmp_ne_u32_e32 vcc, 0, v12
	v_lshrrev_b32_e32 v23, v15, v19
	v_lshlrev_b32_e32 v10, v10, v22
	v_lshl_or_b32 v21, v16, 12, v12
	v_cndmask_b32_e64 v12, 0, 1, vcc
	v_lshlrev_b32_e32 v15, v15, v23
	v_cmp_ne_u32_e32 vcc, v10, v17
	v_lshl_or_b32 v6, v6, 9, v2
	v_lshl_or_b32 v12, v12, 9, v2
	v_cndmask_b32_e64 v10, 0, 1, vcc
	v_cmp_ne_u32_e32 vcc, v15, v19
	v_or_b32_e32 v10, v22, v10
	v_and_b32_sdwa v7, v7, s14 dst_sel:DWORD dst_unused:UNUSED_PAD src0_sel:WORD_1 src1_sel:DWORD
	v_cndmask_b32_e64 v15, 0, 1, vcc
	v_cmp_gt_i32_e32 vcc, 1, v14
	v_or_b32_e32 v15, v23, v15
	v_lshrrev_b32_e32 v13, 16, v13
	v_cndmask_b32_e32 v10, v18, v10, vcc
	v_cmp_gt_i32_e32 vcc, 1, v16
	v_and_b32_e32 v17, 7, v10
	v_cmp_eq_u32_e64 s[0:1], 3, v17
	v_cndmask_b32_e32 v15, v21, v15, vcc
	v_cmp_lt_i32_e32 vcc, 5, v17
	v_lshrrev_b32_e32 v10, 2, v10
	v_and_b32_e32 v18, 7, v15
	s_or_b64 vcc, s[0:1], vcc
	v_cmp_lt_i32_e64 s[2:3], 5, v18
	v_cmp_eq_u32_e64 s[4:5], 3, v18
	v_addc_co_u32_e32 v10, vcc, 0, v10, vcc
	v_lshrrev_b32_e32 v15, 2, v15
	s_or_b64 vcc, s[4:5], s[2:3]
	v_addc_co_u32_e32 v15, vcc, 0, v15, vcc
	v_cmp_gt_i32_e32 vcc, 31, v14
	v_add_u32_e32 v5, s11, v5
	s_nop 0
	v_cndmask_b32_e32 v10, v2, v10, vcc
	v_cmp_gt_i32_e32 vcc, 31, v16
	s_nop 1
	v_cndmask_b32_e32 v15, v2, v15, vcc
	v_cmp_eq_u32_e32 vcc, s10, v14
	s_nop 1
	v_cndmask_b32_e32 v6, v10, v6, vcc
	v_cmp_eq_u32_e32 vcc, s10, v16
	v_bitop3_b32 v6, v7, s17, v6 bitop3:0xc8
	s_nop 0
	v_cndmask_b32_e32 v10, v15, v12, vcc
	v_and_or_b32 v10, v13, s14, v10
	v_lshl_or_b32 v6, v10, 16, v6
	global_store_dword v[4:5], v6, off
	global_load_dword v8, v[8:9], off offset:224
	v_add_u32_e32 v6, 0x1000, v11
	ds_read2_b32 v[6:7], v6 offset0:56 offset1:128
	v_mad_u64_u32 v[4:5], s[0:1], s8, v3, v[4:5]
	v_or_b32_e32 v12, 0x480, v20
	v_add_u32_e32 v5, s11, v5
	s_waitcnt lgkmcnt(0)
	v_lshrrev_b32_e32 v9, 16, v6
	v_lshlrev_b32_e32 v13, 2, v12
	s_waitcnt vmcnt(0)
	v_mul_f16_sdwa v10, v9, v8 dst_sel:DWORD dst_unused:UNUSED_PAD src0_sel:DWORD src1_sel:WORD_1
	v_mul_f16_sdwa v11, v6, v8 dst_sel:DWORD dst_unused:UNUSED_PAD src0_sel:DWORD src1_sel:WORD_1
	v_fma_f16 v6, v6, v8, v10
	v_fma_f16 v8, v8, v9, -v11
	v_cvt_f32_f16_e32 v6, v6
	v_cvt_f32_f16_e32 v10, v8
	v_cvt_f64_f32_e32 v[8:9], v6
	v_cvt_f64_f32_e32 v[10:11], v10
	v_mul_f64 v[8:9], v[8:9], s[6:7]
	v_mul_f64 v[10:11], v[10:11], s[6:7]
	v_and_or_b32 v3, v9, s16, v8
	v_and_or_b32 v10, v11, s16, v10
	v_cmp_ne_u32_e32 vcc, 0, v3
	v_lshrrev_b32_e32 v6, 8, v9
	v_bfe_u32 v8, v9, 20, 11
	v_cndmask_b32_e64 v3, 0, 1, vcc
	v_cmp_ne_u32_e32 vcc, 0, v10
	v_lshrrev_b32_e32 v14, 8, v11
	v_bfe_u32 v15, v11, 20, 11
	v_sub_u32_e32 v16, 0x3f1, v8
	v_cndmask_b32_e64 v10, 0, 1, vcc
	v_and_or_b32 v3, v6, s15, v3
	v_sub_u32_e32 v17, 0x3f1, v15
	v_med3_i32 v6, v16, 0, 13
	v_and_or_b32 v10, v14, s15, v10
	v_or_b32_e32 v16, 0x1000, v3
	v_add_u32_e32 v8, 0xfffffc10, v8
	v_med3_i32 v14, v17, 0, 13
	v_cmp_ne_u32_e32 vcc, 0, v3
	v_or_b32_e32 v18, 0x1000, v10
	v_lshrrev_b32_e32 v20, v6, v16
	v_add_u32_e32 v15, 0xfffffc10, v15
	v_lshl_or_b32 v17, v8, 12, v3
	v_cndmask_b32_e64 v3, 0, 1, vcc
	v_cmp_ne_u32_e32 vcc, 0, v10
	v_lshrrev_b32_e32 v21, v14, v18
	v_lshlrev_b32_e32 v6, v6, v20
	v_lshl_or_b32 v19, v15, 12, v10
	v_cndmask_b32_e64 v10, 0, 1, vcc
	v_lshlrev_b32_e32 v14, v14, v21
	v_cmp_ne_u32_e32 vcc, v6, v16
	v_lshl_or_b32 v3, v3, 9, v2
	v_lshl_or_b32 v10, v10, 9, v2
	v_cndmask_b32_e64 v6, 0, 1, vcc
	v_cmp_ne_u32_e32 vcc, v14, v18
	v_or_b32_e32 v6, v20, v6
	v_and_b32_sdwa v9, v9, s14 dst_sel:DWORD dst_unused:UNUSED_PAD src0_sel:WORD_1 src1_sel:DWORD
	v_cndmask_b32_e64 v14, 0, 1, vcc
	v_cmp_gt_i32_e32 vcc, 1, v8
	v_or_b32_e32 v14, v21, v14
	v_lshrrev_b32_e32 v11, 16, v11
	v_cndmask_b32_e32 v6, v17, v6, vcc
	v_cmp_gt_i32_e32 vcc, 1, v15
	v_and_b32_e32 v16, 7, v6
	v_cmp_eq_u32_e64 s[0:1], 3, v16
	v_cndmask_b32_e32 v14, v19, v14, vcc
	v_cmp_lt_i32_e32 vcc, 5, v16
	v_lshrrev_b32_e32 v6, 2, v6
	v_and_b32_e32 v17, 7, v14
	s_or_b64 vcc, s[0:1], vcc
	v_cmp_lt_i32_e64 s[2:3], 5, v17
	v_cmp_eq_u32_e64 s[4:5], 3, v17
	v_addc_co_u32_e32 v6, vcc, 0, v6, vcc
	v_lshrrev_b32_e32 v14, 2, v14
	s_or_b64 vcc, s[4:5], s[2:3]
	v_addc_co_u32_e32 v14, vcc, 0, v14, vcc
	v_cmp_gt_i32_e32 vcc, 31, v8
	s_nop 1
	v_cndmask_b32_e32 v6, v2, v6, vcc
	v_cmp_gt_i32_e32 vcc, 31, v15
	s_nop 1
	v_cndmask_b32_e32 v14, v2, v14, vcc
	v_cmp_eq_u32_e32 vcc, s10, v8
	s_nop 1
	v_cndmask_b32_e32 v3, v6, v3, vcc
	v_cmp_eq_u32_e32 vcc, s10, v15
	v_bitop3_b32 v3, v9, s17, v3 bitop3:0xc8
	s_nop 0
	v_cndmask_b32_e32 v6, v14, v10, vcc
	v_and_or_b32 v6, v11, s14, v6
	v_lshl_or_b32 v3, v6, 16, v3
	global_store_dword v[4:5], v3, off
	global_load_dword v3, v13, s[12:13]
	v_mad_u64_u32 v[4:5], s[0:1], s8, v12, 0
	v_mov_b32_e32 v6, v5
	v_lshrrev_b32_e32 v5, 16, v7
	s_waitcnt vmcnt(0)
	v_mul_f16_sdwa v8, v5, v3 dst_sel:DWORD dst_unused:UNUSED_PAD src0_sel:DWORD src1_sel:WORD_1
	v_mul_f16_sdwa v9, v7, v3 dst_sel:DWORD dst_unused:UNUSED_PAD src0_sel:DWORD src1_sel:WORD_1
	v_fma_f16 v7, v7, v3, v8
	v_fma_f16 v3, v3, v5, -v9
	v_cvt_f32_f16_e32 v8, v7
	v_cvt_f32_f16_e32 v3, v3
	v_mad_u64_u32 v[6:7], s[0:1], s9, v12, v[6:7]
	v_mov_b32_e32 v5, v6
	v_cvt_f64_f32_e32 v[6:7], v8
	v_cvt_f64_f32_e32 v[8:9], v3
	v_mul_f64 v[6:7], v[6:7], s[6:7]
	v_mul_f64 v[8:9], v[8:9], s[6:7]
	v_and_or_b32 v3, v7, s16, v6
	v_and_or_b32 v8, v9, s16, v8
	v_cmp_ne_u32_e32 vcc, 0, v3
	v_lshrrev_b32_e32 v6, 8, v7
	v_bfe_u32 v10, v7, 20, 11
	v_cndmask_b32_e64 v3, 0, 1, vcc
	v_cmp_ne_u32_e32 vcc, 0, v8
	v_lshrrev_b32_e32 v11, 8, v9
	v_bfe_u32 v12, v9, 20, 11
	v_sub_u32_e32 v13, 0x3f1, v10
	v_cndmask_b32_e64 v8, 0, 1, vcc
	v_and_or_b32 v3, v6, s15, v3
	v_sub_u32_e32 v14, 0x3f1, v12
	v_med3_i32 v6, v13, 0, 13
	v_and_or_b32 v8, v11, s15, v8
	v_or_b32_e32 v13, 0x1000, v3
	v_add_u32_e32 v10, 0xfffffc10, v10
	v_med3_i32 v11, v14, 0, 13
	v_cmp_ne_u32_e32 vcc, 0, v3
	v_or_b32_e32 v15, 0x1000, v8
	v_lshrrev_b32_e32 v17, v6, v13
	v_add_u32_e32 v12, 0xfffffc10, v12
	v_lshl_or_b32 v14, v10, 12, v3
	v_cndmask_b32_e64 v3, 0, 1, vcc
	v_cmp_ne_u32_e32 vcc, 0, v8
	v_lshrrev_b32_e32 v18, v11, v15
	v_lshlrev_b32_e32 v6, v6, v17
	v_lshl_or_b32 v16, v12, 12, v8
	v_cndmask_b32_e64 v8, 0, 1, vcc
	v_lshlrev_b32_e32 v11, v11, v18
	v_cmp_ne_u32_e32 vcc, v6, v13
	v_lshl_or_b32 v3, v3, 9, v2
	v_lshl_or_b32 v8, v8, 9, v2
	v_cndmask_b32_e64 v6, 0, 1, vcc
	v_cmp_ne_u32_e32 vcc, v11, v15
	v_or_b32_e32 v6, v17, v6
	v_and_b32_sdwa v7, v7, s14 dst_sel:DWORD dst_unused:UNUSED_PAD src0_sel:WORD_1 src1_sel:DWORD
	v_cndmask_b32_e64 v11, 0, 1, vcc
	v_cmp_gt_i32_e32 vcc, 1, v10
	v_or_b32_e32 v11, v18, v11
	v_lshrrev_b32_e32 v9, 16, v9
	v_cndmask_b32_e32 v6, v14, v6, vcc
	v_cmp_gt_i32_e32 vcc, 1, v12
	v_and_b32_e32 v13, 7, v6
	v_cmp_eq_u32_e64 s[0:1], 3, v13
	v_cndmask_b32_e32 v11, v16, v11, vcc
	v_cmp_lt_i32_e32 vcc, 5, v13
	v_lshrrev_b32_e32 v6, 2, v6
	v_and_b32_e32 v14, 7, v11
	s_or_b64 vcc, s[0:1], vcc
	v_cmp_lt_i32_e64 s[2:3], 5, v14
	v_cmp_eq_u32_e64 s[4:5], 3, v14
	v_addc_co_u32_e32 v6, vcc, 0, v6, vcc
	v_lshrrev_b32_e32 v11, 2, v11
	s_or_b64 vcc, s[4:5], s[2:3]
	v_addc_co_u32_e32 v11, vcc, 0, v11, vcc
	v_cmp_gt_i32_e32 vcc, 31, v10
	v_lshl_add_u64 v[0:1], v[4:5], 2, v[0:1]
	s_nop 0
	v_cndmask_b32_e32 v6, v2, v6, vcc
	v_cmp_gt_i32_e32 vcc, 31, v12
	s_nop 1
	v_cndmask_b32_e32 v2, v2, v11, vcc
	v_cmp_eq_u32_e32 vcc, s10, v10
	s_nop 1
	v_cndmask_b32_e32 v3, v6, v3, vcc
	v_cmp_eq_u32_e32 vcc, s10, v12
	v_bitop3_b32 v3, v7, s17, v3 bitop3:0xc8
	s_nop 0
	v_cndmask_b32_e32 v2, v2, v8, vcc
	v_and_or_b32 v2, v9, s14, v2
	v_lshl_or_b32 v2, v2, 16, v3
	global_store_dword v[0:1], v2, off
.LBB0_15:
	s_endpgm
	.section	.rodata,"a",@progbits
	.p2align	6, 0x0
	.amdhsa_kernel bluestein_single_fwd_len1224_dim1_half_op_CI_CI
		.amdhsa_group_segment_fixed_size 9792
		.amdhsa_private_segment_fixed_size 0
		.amdhsa_kernarg_size 104
		.amdhsa_user_sgpr_count 2
		.amdhsa_user_sgpr_dispatch_ptr 0
		.amdhsa_user_sgpr_queue_ptr 0
		.amdhsa_user_sgpr_kernarg_segment_ptr 1
		.amdhsa_user_sgpr_dispatch_id 0
		.amdhsa_user_sgpr_kernarg_preload_length 0
		.amdhsa_user_sgpr_kernarg_preload_offset 0
		.amdhsa_user_sgpr_private_segment_size 0
		.amdhsa_uses_dynamic_stack 0
		.amdhsa_enable_private_segment 0
		.amdhsa_system_sgpr_workgroup_id_x 1
		.amdhsa_system_sgpr_workgroup_id_y 0
		.amdhsa_system_sgpr_workgroup_id_z 0
		.amdhsa_system_sgpr_workgroup_info 0
		.amdhsa_system_vgpr_workitem_id 0
		.amdhsa_next_free_vgpr 208
		.amdhsa_next_free_sgpr 35
		.amdhsa_accum_offset 208
		.amdhsa_reserve_vcc 1
		.amdhsa_float_round_mode_32 0
		.amdhsa_float_round_mode_16_64 0
		.amdhsa_float_denorm_mode_32 3
		.amdhsa_float_denorm_mode_16_64 3
		.amdhsa_dx10_clamp 1
		.amdhsa_ieee_mode 1
		.amdhsa_fp16_overflow 0
		.amdhsa_tg_split 0
		.amdhsa_exception_fp_ieee_invalid_op 0
		.amdhsa_exception_fp_denorm_src 0
		.amdhsa_exception_fp_ieee_div_zero 0
		.amdhsa_exception_fp_ieee_overflow 0
		.amdhsa_exception_fp_ieee_underflow 0
		.amdhsa_exception_fp_ieee_inexact 0
		.amdhsa_exception_int_div_zero 0
	.end_amdhsa_kernel
	.text
.Lfunc_end0:
	.size	bluestein_single_fwd_len1224_dim1_half_op_CI_CI, .Lfunc_end0-bluestein_single_fwd_len1224_dim1_half_op_CI_CI
                                        ; -- End function
	.section	.AMDGPU.csdata,"",@progbits
; Kernel info:
; codeLenInByte = 28776
; NumSgprs: 41
; NumVgprs: 208
; NumAgprs: 0
; TotalNumVgprs: 208
; ScratchSize: 0
; MemoryBound: 0
; FloatMode: 240
; IeeeMode: 1
; LDSByteSize: 9792 bytes/workgroup (compile time only)
; SGPRBlocks: 5
; VGPRBlocks: 25
; NumSGPRsForWavesPerEU: 41
; NumVGPRsForWavesPerEU: 208
; AccumOffset: 208
; Occupancy: 2
; WaveLimiterHint : 1
; COMPUTE_PGM_RSRC2:SCRATCH_EN: 0
; COMPUTE_PGM_RSRC2:USER_SGPR: 2
; COMPUTE_PGM_RSRC2:TRAP_HANDLER: 0
; COMPUTE_PGM_RSRC2:TGID_X_EN: 1
; COMPUTE_PGM_RSRC2:TGID_Y_EN: 0
; COMPUTE_PGM_RSRC2:TGID_Z_EN: 0
; COMPUTE_PGM_RSRC2:TIDIG_COMP_CNT: 0
; COMPUTE_PGM_RSRC3_GFX90A:ACCUM_OFFSET: 51
; COMPUTE_PGM_RSRC3_GFX90A:TG_SPLIT: 0
	.text
	.p2alignl 6, 3212836864
	.fill 256, 4, 3212836864
	.type	__hip_cuid_c77fbd0b48b9bf60,@object ; @__hip_cuid_c77fbd0b48b9bf60
	.section	.bss,"aw",@nobits
	.globl	__hip_cuid_c77fbd0b48b9bf60
__hip_cuid_c77fbd0b48b9bf60:
	.byte	0                               ; 0x0
	.size	__hip_cuid_c77fbd0b48b9bf60, 1

	.ident	"AMD clang version 19.0.0git (https://github.com/RadeonOpenCompute/llvm-project roc-6.4.0 25133 c7fe45cf4b819c5991fe208aaa96edf142730f1d)"
	.section	".note.GNU-stack","",@progbits
	.addrsig
	.addrsig_sym __hip_cuid_c77fbd0b48b9bf60
	.amdgpu_metadata
---
amdhsa.kernels:
  - .agpr_count:     0
    .args:
      - .actual_access:  read_only
        .address_space:  global
        .offset:         0
        .size:           8
        .value_kind:     global_buffer
      - .actual_access:  read_only
        .address_space:  global
        .offset:         8
        .size:           8
        .value_kind:     global_buffer
      - .actual_access:  read_only
        .address_space:  global
        .offset:         16
        .size:           8
        .value_kind:     global_buffer
      - .actual_access:  read_only
        .address_space:  global
        .offset:         24
        .size:           8
        .value_kind:     global_buffer
      - .actual_access:  read_only
        .address_space:  global
        .offset:         32
        .size:           8
        .value_kind:     global_buffer
      - .offset:         40
        .size:           8
        .value_kind:     by_value
      - .address_space:  global
        .offset:         48
        .size:           8
        .value_kind:     global_buffer
      - .address_space:  global
        .offset:         56
        .size:           8
        .value_kind:     global_buffer
      - .address_space:  global
        .offset:         64
        .size:           8
        .value_kind:     global_buffer
      - .address_space:  global
        .offset:         72
        .size:           8
        .value_kind:     global_buffer
      - .offset:         80
        .size:           4
        .value_kind:     by_value
      - .address_space:  global
        .offset:         88
        .size:           8
        .value_kind:     global_buffer
      - .address_space:  global
        .offset:         96
        .size:           8
        .value_kind:     global_buffer
    .group_segment_fixed_size: 9792
    .kernarg_segment_align: 8
    .kernarg_segment_size: 104
    .language:       OpenCL C
    .language_version:
      - 2
      - 0
    .max_flat_workgroup_size: 204
    .name:           bluestein_single_fwd_len1224_dim1_half_op_CI_CI
    .private_segment_fixed_size: 0
    .sgpr_count:     41
    .sgpr_spill_count: 0
    .symbol:         bluestein_single_fwd_len1224_dim1_half_op_CI_CI.kd
    .uniform_work_group_size: 1
    .uses_dynamic_stack: false
    .vgpr_count:     208
    .vgpr_spill_count: 0
    .wavefront_size: 64
amdhsa.target:   amdgcn-amd-amdhsa--gfx950
amdhsa.version:
  - 1
  - 2
...

	.end_amdgpu_metadata
